;; amdgpu-corpus repo=ROCm/rocFFT kind=compiled arch=gfx1201 opt=O3
	.text
	.amdgcn_target "amdgcn-amd-amdhsa--gfx1201"
	.amdhsa_code_object_version 6
	.protected	bluestein_single_fwd_len6561_dim1_half_op_CI_CI ; -- Begin function bluestein_single_fwd_len6561_dim1_half_op_CI_CI
	.globl	bluestein_single_fwd_len6561_dim1_half_op_CI_CI
	.p2align	8
	.type	bluestein_single_fwd_len6561_dim1_half_op_CI_CI,@function
bluestein_single_fwd_len6561_dim1_half_op_CI_CI: ; @bluestein_single_fwd_len6561_dim1_half_op_CI_CI
; %bb.0:
	s_load_b128 s[12:15], s[0:1], 0x28
	v_mul_u32_u24_e32 v1, 0x10e, v0
	s_mov_b32 s2, exec_lo
	v_mov_b32_e32 v3, 0
	s_delay_alu instid0(VALU_DEP_2) | instskip(NEXT) | instid1(VALU_DEP_1)
	v_lshrrev_b32_e32 v1, 16, v1
	v_add_nc_u32_e32 v2, ttmp9, v1
	s_wait_kmcnt 0x0
	s_delay_alu instid0(VALU_DEP_1)
	v_cmpx_gt_u64_e64 s[12:13], v[2:3]
	s_cbranch_execz .LBB0_2
; %bb.1:
	s_clause 0x1
	s_load_b128 s[8:11], s[0:1], 0x18
	s_load_b128 s[4:7], s[0:1], 0x0
	v_mul_lo_u16 v1, 0xf3, v1
	s_movk_i32 s12, 0xbf74
	s_mov_b32 s13, -1
	s_load_b64 s[0:1], s[0:1], 0x38
	s_delay_alu instid0(VALU_DEP_1) | instskip(SKIP_1) | instid1(VALU_DEP_2)
	v_sub_nc_u16 v1, v0, v1
	v_mov_b32_e32 v0, v2
	v_and_b32_e32 v174, 0xffff, v1
	v_and_b32_e32 v57, 0xff, v1
	s_wait_kmcnt 0x0
	s_load_b128 s[16:19], s[8:9], 0x0
	s_wait_kmcnt 0x0
	v_mad_co_u64_u32 v[2:3], null, s18, v0, 0
	v_mad_co_u64_u32 v[4:5], null, s16, v174, 0
	s_mul_u64 s[2:3], s[16:17], 0x222c
	s_mul_u64 s[8:9], s[16:17], s[12:13]
	s_delay_alu instid0(VALU_DEP_1) | instskip(NEXT) | instid1(VALU_DEP_1)
	v_mad_co_u64_u32 v[6:7], null, s19, v0, v[3:4]
	v_mov_b32_e32 v3, v6
	s_delay_alu instid0(VALU_DEP_3) | instskip(SKIP_2) | instid1(VALU_DEP_4)
	v_mad_co_u64_u32 v[7:8], null, s17, v174, v[5:6]
	v_lshlrev_b32_e32 v120, 2, v174
	v_add_co_u32 v83, null, 0xf3, v174
	v_lshlrev_b64_e32 v[2:3], 2, v[2:3]
	v_add_co_u32 v82, null, 0x1e6, v174
	v_mov_b32_e32 v5, v7
	scratch_store_b64 off, v[0:1], off offset:184 ; 8-byte Folded Spill
	v_add_nc_u32_e32 v56, 0x4800, v120
	v_add_co_u32 v0, vcc_lo, s14, v2
	v_lshlrev_b64_e32 v[4:5], 2, v[4:5]
	v_add_co_ci_u32_e32 v3, vcc_lo, s15, v3, vcc_lo
	s_delay_alu instid0(VALU_DEP_4)
	v_mov_b32_e32 v165, v56
	s_clause 0x4
	global_load_b32 v50, v120, s[4:5] offset:17496
	global_load_b32 v177, v120, s[4:5]
	global_load_b32 v178, v120, s[4:5] offset:972
	global_load_b32 v51, v120, s[4:5] offset:8748
	;; [unrolled: 1-line block ×3, first 2 shown]
	v_add_co_u32 v2, vcc_lo, v0, v4
	s_wait_alu 0xfffd
	v_add_co_ci_u32_e32 v3, vcc_lo, v3, v5, vcc_lo
	v_add_nc_u32_e32 v176, 0x25e0, v120
	s_delay_alu instid0(VALU_DEP_3) | instskip(SKIP_1) | instid1(VALU_DEP_3)
	v_add_co_u32 v4, vcc_lo, v2, s2
	s_wait_alu 0xfffd
	v_add_co_ci_u32_e32 v5, vcc_lo, s3, v3, vcc_lo
	global_load_b32 v10, v[2:3], off
	v_add_nc_u32_e32 v160, 0x2d80, v120
	v_add_nc_u32_e32 v147, 0x3500, v120
	global_load_b32 v9, v[4:5], off
	v_add_co_u32 v2, vcc_lo, v4, s2
	s_wait_alu 0xfffd
	v_add_co_ci_u32_e32 v3, vcc_lo, s3, v5, vcc_lo
	v_add_nc_u32_e32 v141, 0x16c0, v120
	s_delay_alu instid0(VALU_DEP_3) | instskip(SKIP_1) | instid1(VALU_DEP_3)
	v_add_co_u32 v4, vcc_lo, v2, s8
	s_wait_alu 0xfffd
	v_add_co_ci_u32_e32 v5, vcc_lo, s9, v3, vcc_lo
	s_clause 0x1
	global_load_b32 v8, v[2:3], off
	global_load_b32 v3, v[4:5], off
	v_add_co_u32 v4, vcc_lo, v4, s2
	s_wait_alu 0xfffd
	v_add_co_ci_u32_e32 v5, vcc_lo, s3, v5, vcc_lo
	s_clause 0x1
	global_load_b32 v49, v120, s[4:5] offset:18468
	global_load_b32 v47, v120, s[4:5] offset:1944
	global_load_b32 v6, v[4:5], off
	v_add_co_u32 v4, vcc_lo, v4, s2
	s_wait_alu 0xfffd
	v_add_co_ci_u32_e32 v5, vcc_lo, s3, v5, vcc_lo
	global_load_b32 v46, v120, s[4:5] offset:10692
	v_add_co_u32 v11, vcc_lo, v4, s8
	s_wait_alu 0xfffd
	v_add_co_ci_u32_e32 v12, vcc_lo, s9, v5, vcc_lo
	global_load_b32 v5, v[4:5], off
	v_add_co_u32 v13, vcc_lo, v11, s2
	s_wait_alu 0xfffd
	v_add_co_ci_u32_e32 v14, vcc_lo, s3, v12, vcc_lo
	global_load_b32 v44, v120, s[4:5] offset:19440
	global_load_b32 v4, v[11:12], off
	global_load_b32 v7, v[13:14], off
	v_add_co_u32 v11, vcc_lo, v13, s2
	s_wait_alu 0xfffd
	v_add_co_ci_u32_e32 v12, vcc_lo, s3, v14, vcc_lo
	v_add_nc_u32_e32 v139, 0x3cc0, v120
	v_add_nc_u32_e32 v185, 0x4440, v120
	v_add_nc_u32_e32 v186, 0x1e40, v120
	global_load_b32 v2, v[11:12], off
	v_add_co_u32 v11, vcc_lo, v11, s8
	s_wait_alu 0xfffd
	v_add_co_ci_u32_e32 v12, vcc_lo, s9, v12, vcc_lo
	s_clause 0x1
	global_load_b32 v45, v120, s[4:5] offset:2916
	global_load_b32 v43, v120, s[4:5] offset:11664
	global_load_b32 v0, v[11:12], off
	v_add_co_u32 v11, vcc_lo, v11, s2
	s_wait_alu 0xfffd
	v_add_co_ci_u32_e32 v12, vcc_lo, s3, v12, vcc_lo
	s_clause 0x1
	global_load_b32 v40, v120, s[4:5] offset:12636
	global_load_b32 v42, v120, s[4:5] offset:20412
	global_load_b32 v17, v[11:12], off
	v_add_co_u32 v11, vcc_lo, v11, s2
	s_wait_alu 0xfffd
	v_add_co_ci_u32_e32 v12, vcc_lo, s3, v12, vcc_lo
	global_load_b32 v18, v[11:12], off
	global_load_b32 v41, v120, s[4:5] offset:3888
	v_add_co_u32 v13, vcc_lo, v11, s8
	s_wait_alu 0xfffd
	v_add_co_ci_u32_e32 v14, vcc_lo, s9, v12, vcc_lo
	v_add_nc_u32_e32 v179, 0x4bc0, v120
	s_delay_alu instid0(VALU_DEP_3) | instskip(SKIP_1) | instid1(VALU_DEP_3)
	v_add_co_u32 v11, vcc_lo, v13, s2
	s_wait_alu 0xfffd
	v_add_co_ci_u32_e32 v12, vcc_lo, s3, v14, vcc_lo
	global_load_b32 v19, v[13:14], off
	global_load_b32 v20, v[11:12], off
	global_load_b32 v39, v120, s[4:5] offset:21384
	v_add_co_u32 v11, vcc_lo, v11, s2
	s_wait_alu 0xfffd
	v_add_co_ci_u32_e32 v12, vcc_lo, s3, v12, vcc_lo
	global_load_b32 v38, v120, s[4:5] offset:4860
	global_load_b32 v21, v[11:12], off
	v_add_co_u32 v11, vcc_lo, v11, s8
	s_wait_alu 0xfffd
	v_add_co_ci_u32_e32 v12, vcc_lo, s9, v12, vcc_lo
	s_clause 0x1
	global_load_b32 v37, v120, s[4:5] offset:13608
	global_load_b32 v34, v120, s[4:5] offset:14580
	v_add_co_u32 v13, vcc_lo, v11, s2
	s_wait_alu 0xfffd
	v_add_co_ci_u32_e32 v14, vcc_lo, s3, v12, vcc_lo
	global_load_b32 v22, v[11:12], off
	v_add_co_u32 v11, vcc_lo, v13, s2
	s_wait_alu 0xfffd
	v_add_co_ci_u32_e32 v12, vcc_lo, s3, v14, vcc_lo
	global_load_b32 v23, v[13:14], off
	v_add_co_u32 v13, vcc_lo, v11, s8
	s_wait_alu 0xfffd
	v_add_co_ci_u32_e32 v14, vcc_lo, s9, v12, vcc_lo
	global_load_b32 v36, v120, s[4:5] offset:22356
	v_add_co_u32 v15, vcc_lo, v13, s2
	s_wait_alu 0xfffd
	v_add_co_ci_u32_e32 v16, vcc_lo, s3, v14, vcc_lo
	global_load_b32 v24, v[11:12], off
	global_load_b32 v25, v[15:16], off
	v_add_co_u32 v11, vcc_lo, v15, s2
	s_wait_alu 0xfffd
	v_add_co_ci_u32_e32 v12, vcc_lo, s3, v16, vcc_lo
	global_load_b32 v33, v120, s[4:5] offset:23328
	global_load_b32 v15, v[11:12], off
	global_load_b32 v35, v120, s[4:5] offset:5832
	global_load_b32 v13, v[13:14], off
	v_add_co_u32 v11, vcc_lo, v11, s8
	s_wait_alu 0xfffd
	v_add_co_ci_u32_e32 v12, vcc_lo, s9, v12, vcc_lo
	global_load_b32 v32, v120, s[4:5] offset:6804
	global_load_b32 v14, v[11:12], off
	s_clause 0x1
	global_load_b32 v30, v120, s[4:5] offset:16524
	global_load_b32 v31, v120, s[4:5] offset:7776
	v_add_co_u32 v11, vcc_lo, v11, s2
	s_wait_alu 0xfffd
	v_add_co_ci_u32_e32 v12, vcc_lo, s3, v12, vcc_lo
	v_add_nc_u32_e32 v158, 0x5380, v120
	v_add_nc_u32_e32 v142, 0x5b00, v120
	v_add_co_u32 v88, null, 0x2d9, v174
	v_add_co_u32 v113, null, 0x3cc, v174
	;; [unrolled: 1-line block ×5, first 2 shown]
	v_and_b32_e32 v75, 0xffff, v82
	v_and_b32_e32 v74, 0xffff, v88
	;; [unrolled: 1-line block ×6, first 2 shown]
	s_wait_loadcnt 0x2c
	v_lshrrev_b32_e32 v28, 16, v177
	s_wait_loadcnt 0x2b
	v_lshrrev_b32_e32 v55, 16, v178
	;; [unrolled: 2-line block ×3, first 2 shown]
	v_lshrrev_b32_e32 v53, 16, v50
	s_wait_loadcnt 0x29
	v_lshrrev_b32_e32 v52, 16, v48
	s_clause 0x2
	scratch_store_b32 off, v51, off offset:204
	scratch_store_b32 off, v54, off offset:200
	scratch_store_b32 off, v50, off offset:196
	s_wait_loadcnt 0x28
	v_lshrrev_b32_e32 v16, 16, v10
	v_mul_f16_e32 v26, v28, v10
	s_wait_loadcnt 0x27
	v_mul_f16_e32 v29, v54, v9
	s_delay_alu instid0(VALU_DEP_3) | instskip(SKIP_2) | instid1(VALU_DEP_3)
	v_mul_f16_e32 v27, v28, v16
	v_lshrrev_b32_e32 v28, 16, v9
	v_fma_f16 v16, v177, v16, -v26
	v_fmac_f16_e64 v27, v177, v10
	s_delay_alu instid0(VALU_DEP_3)
	v_mul_f16_e32 v10, v54, v28
	v_fma_f16 v28, v51, v28, -v29
	s_wait_loadcnt 0x26
	v_lshrrev_b32_e32 v26, 16, v8
	v_mul_f16_e32 v29, v53, v8
	v_pack_b32_f16 v16, v27, v16
	v_fmac_f16_e32 v10, v51, v9
	s_wait_loadcnt 0x25
	v_lshrrev_b32_e32 v27, 16, v3
	v_mul_f16_e32 v9, v53, v26
	v_fma_f16 v26, v50, v26, -v29
	v_mul_f16_e32 v29, v55, v3
	s_wait_loadcnt 0x24
	v_lshrrev_b32_e32 v51, 16, v49
	v_pack_b32_f16 v10, v10, v28
	v_fmac_f16_e32 v9, v50, v8
	v_mul_f16_e32 v8, v55, v27
	v_fma_f16 v27, v178, v27, -v29
	s_wait_loadcnt 0x22
	v_lshrrev_b32_e32 v28, 16, v6
	v_mul_f16_e32 v29, v52, v6
	v_lshrrev_b32_e32 v50, 16, v47
	v_fmac_f16_e64 v8, v178, v3
	v_pack_b32_f16 v9, v9, v26
	ds_store_b32 v120, v10 offset:8748
	v_mul_f16_e32 v3, v52, v28
	v_fma_f16 v10, v48, v28, -v29
	s_wait_loadcnt 0x20
	v_lshrrev_b32_e32 v26, 16, v5
	ds_store_b32 v120, v9 offset:17496
	v_mul_f16_e32 v28, v51, v5
	v_pack_b32_f16 v8, v8, v27
	v_lshrrev_b32_e32 v29, 16, v46
	s_wait_loadcnt 0x1f
	v_lshrrev_b32_e32 v27, 16, v44
	v_fmac_f16_e32 v3, v48, v6
	v_fma_f16 v6, v49, v26, -v28
	v_mul_f16_e32 v9, v51, v26
	s_wait_loadcnt 0x1e
	v_lshrrev_b32_e32 v26, 16, v4
	ds_store_2addr_b32 v120, v16, v8 offset1:243
	v_mul_f16_e32 v8, v50, v4
	s_wait_loadcnt 0x1d
	v_lshrrev_b32_e32 v16, 16, v7
	v_dual_mov_b32 v28, v27 :: v_dual_add_nc_u32 v171, 0x780, v120
	v_pack_b32_f16 v3, v3, v10
	v_mul_f16_e32 v10, v29, v7
	v_fmac_f16_e32 v9, v49, v5
	v_fma_f16 v5, v47, v26, -v8
	v_mul_f16_e32 v8, v50, v26
	v_mul_f16_e32 v26, v29, v16
	v_fma_f16 v10, v46, v16, -v10
	v_pack_b32_f16 v6, v9, v6
	s_wait_loadcnt 0x1c
	v_lshrrev_b32_e32 v9, 16, v2
	v_mul_f16_e32 v16, v28, v2
	v_fmac_f16_e32 v26, v46, v7
	s_clause 0x4
	scratch_store_b32 off, v48, off offset:172
	scratch_store_b32 off, v49, off offset:176
	;; [unrolled: 1-line block ×5, first 2 shown]
	s_wait_loadcnt 0x1b
	v_lshrrev_b32_e32 v29, 16, v45
	v_fmac_f16_e32 v8, v47, v4
	v_fma_f16 v4, v44, v9, -v16
	v_mul_f16_e32 v7, v28, v9
	v_pack_b32_f16 v9, v26, v10
	s_wait_loadcnt 0x19
	v_lshrrev_b32_e32 v10, 16, v0
	v_lshrrev_b32_e32 v27, 16, v43
	v_pack_b32_f16 v5, v8, v5
	v_fmac_f16_e32 v7, v44, v2
	v_mul_f16_e32 v2, v29, v0
	ds_store_2addr_b32 v176, v3, v9 offset0:6 offset1:249
	v_mul_f16_e32 v3, v29, v10
	s_wait_loadcnt 0x16
	v_lshrrev_b32_e32 v8, 16, v17
	v_pack_b32_f16 v4, v7, v4
	v_fma_f16 v2, v45, v10, -v2
	v_lshrrev_b32_e32 v9, 16, v42
	v_fmac_f16_e32 v3, v45, v0
	v_mul_f16_e32 v7, v27, v17
	v_mul_f16_e32 v0, v27, v8
	s_clause 0x1
	scratch_store_b32 off, v53, off offset:192
	scratch_store_b32 off, v51, off offset:180
	v_pack_b32_f16 v2, v3, v2
	s_clause 0x5
	scratch_store_b32 off, v44, off offset:140
	scratch_store_b32 off, v29, off offset:148
	;; [unrolled: 1-line block ×6, first 2 shown]
	v_lshrrev_b32_e32 v16, 16, v40
	s_clause 0x1
	scratch_store_b32 off, v9, off offset:120
	scratch_store_b32 off, v45, off offset:144
	ds_store_2addr_b32 v56, v6, v4 offset0:9 offset1:252
	s_wait_loadcnt 0x15
	v_lshrrev_b32_e32 v4, 16, v18
	v_mul_f16_e32 v6, v9, v18
	v_fma_f16 v7, v43, v8, -v7
	s_wait_loadcnt 0x14
	v_lshrrev_b32_e32 v8, 16, v41
	v_fmac_f16_e32 v0, v43, v17
	ds_store_2addr_b32 v171, v5, v2 offset0:6 offset1:249
	s_wait_loadcnt 0x12
	v_lshrrev_b32_e32 v2, 16, v20
	v_fma_f16 v3, v42, v4, -v6
	v_mul_f16_e32 v4, v9, v4
	v_mov_b32_e32 v9, v8
	v_mul_f16_e32 v8, v16, v20
	v_pack_b32_f16 v0, v0, v7
	v_mul_f16_e32 v7, v16, v2
	s_clause 0x5
	scratch_store_b32 off, v27, off offset:128
	scratch_store_b32 off, v43, off offset:132
	;; [unrolled: 1-line block ×6, first 2 shown]
	v_lshrrev_b32_e32 v6, 16, v19
	v_mul_f16_e32 v5, v9, v19
	s_wait_loadcnt 0x11
	v_lshrrev_b32_e32 v16, 16, v39
	v_fma_f16 v2, v40, v2, -v8
	v_fmac_f16_e32 v7, v40, v20
	s_wait_loadcnt 0xf
	v_lshrrev_b32_e32 v8, 16, v21
	v_fmac_f16_e32 v4, v42, v18
	v_fma_f16 v5, v41, v6, -v5
	v_mul_f16_e32 v6, v9, v6
	v_mul_f16_e32 v9, v16, v21
	v_pack_b32_f16 v2, v7, v2
	v_lshrrev_b32_e32 v10, 16, v38
	v_mul_f16_e32 v7, v16, v8
	v_pack_b32_f16 v3, v4, v3
	v_fmac_f16_e32 v6, v41, v19
	v_fma_f16 v4, v39, v8, -v9
	ds_store_2addr_b32 v160, v0, v2 offset0:4 offset1:247
	s_wait_loadcnt 0xc
	v_lshrrev_b32_e32 v0, 16, v22
	v_mul_f16_e32 v2, v10, v22
	v_fmac_f16_e32 v7, v39, v21
	v_add_nc_u32_e32 v17, 0x4fa0, v120
	v_lshrrev_b32_e32 v9, 16, v37
	v_pack_b32_f16 v5, v6, v5
	v_mul_f16_e32 v6, v10, v0
	v_fma_f16 v0, v38, v0, -v2
	v_pack_b32_f16 v2, v7, v4
	s_wait_loadcnt 0xb
	v_lshrrev_b32_e32 v4, 16, v23
	v_mul_f16_e32 v7, v9, v23
	v_fmac_f16_e32 v6, v38, v22
	v_lshrrev_b32_e32 v8, 16, v34
	ds_store_2addr_b32 v17, v3, v2 offset0:7 offset1:250
	v_mul_f16_e32 v2, v9, v4
	v_dual_mov_b32 v170, v17 :: v_dual_add_nc_u32 v157, 0xf00, v120
	s_clause 0x2
	scratch_store_b32 off, v9, off offset:80
	scratch_store_b32 off, v34, off offset:56
	scratch_store_b32 off, v8, off offset:60
	s_wait_loadcnt 0xa
	s_clause 0x1
	scratch_store_b32 off, v36, off offset:72
	scratch_store_b32 off, v37, off offset:76
	v_lshrrev_b32_e32 v9, 16, v36
	v_fma_f16 v3, v37, v4, -v7
	v_pack_b32_f16 v0, v6, v0
	v_fmac_f16_e32 v2, v37, v23
	s_wait_loadcnt 0x8
	v_lshrrev_b32_e32 v6, 16, v25
	v_lshrrev_b32_e32 v4, 16, v24
	v_mul_f16_e32 v7, v9, v24
	ds_store_2addr_b32 v157, v5, v0 offset0:12 offset1:255
	v_mul_f16_e32 v0, v8, v25
	v_pack_b32_f16 v2, v2, v3
	v_mul_f16_e32 v3, v8, v6
	v_fma_f16 v5, v36, v4, -v7
	v_mul_f16_e32 v4, v9, v4
	v_fma_f16 v0, v34, v6, -v0
	s_wait_loadcnt 0x7
	v_lshrrev_b32_e32 v6, 16, v33
	v_fmac_f16_e32 v3, v34, v25
	s_clause 0x1
	scratch_store_b32 off, v39, off offset:96
	scratch_store_b32 off, v16, off offset:100
	v_fmac_f16_e32 v4, v36, v24
	s_clause 0x1
	scratch_store_b32 off, v38, off offset:88
	scratch_store_b32 off, v10, off offset:92
	v_pack_b32_f16 v0, v3, v0
	s_wait_loadcnt 0x6
	v_lshrrev_b32_e32 v3, 16, v15
	scratch_store_b32 off, v9, off offset:84 ; 4-byte Folded Spill
	s_clause 0x1
	global_load_b32 v17, v120, s[4:5] offset:24300
	global_load_b32 v16, v120, s[4:5] offset:25272
	scratch_store_b32 off, v6, off offset:52 ; 4-byte Folded Spill
	v_pack_b32_f16 v4, v4, v5
	v_mul_f16_e32 v5, v6, v15
	ds_store_2addr_b32 v147, v2, v0 offset0:10 offset1:253
	v_mul_f16_e32 v0, v6, v3
	s_wait_loadcnt 0x7
	v_lshrrev_b32_e32 v6, 16, v35
	scratch_store_b32 off, v35, off offset:64 ; 4-byte Folded Spill
	v_fma_f16 v2, v33, v3, -v5
	s_wait_loadcnt 0x6
	v_lshrrev_b32_e32 v3, 16, v13
	v_fmac_f16_e32 v0, v33, v15
	scratch_store_b32 off, v6, off offset:68 ; 4-byte Folded Spill
	v_mul_f16_e32 v5, v6, v13
	v_and_b32_e32 v56, 0xffff, v83
	v_pack_b32_f16 v0, v0, v2
	v_add_nc_u32_e32 v2, 0x5740, v120
	s_delay_alu instid0(VALU_DEP_4)
	v_fma_f16 v5, v35, v3, -v5
	v_mul_f16_e32 v3, v6, v3
	s_wait_loadcnt 0x5
	v_lshrrev_b32_e32 v6, 16, v32
	scratch_store_b32 off, v32, off offset:40 ; 4-byte Folded Spill
	ds_store_2addr_b32 v2, v4, v0 offset0:5 offset1:248
	v_mov_b32_e32 v168, v2
	s_wait_loadcnt 0x4
	v_lshrrev_b32_e32 v0, 16, v14
	scratch_store_b32 off, v6, off offset:44 ; 4-byte Folded Spill
	v_mul_f16_e32 v2, v6, v14
	v_fmac_f16_e32 v3, v35, v13
	scratch_store_b32 off, v33, off offset:48 ; 4-byte Folded Spill
	v_fma_f16 v2, v32, v0, -v2
	v_mul_f16_e32 v0, v6, v0
	v_pack_b32_f16 v4, v3, v5
	s_delay_alu instid0(VALU_DEP_2) | instskip(NEXT) | instid1(VALU_DEP_1)
	v_fmac_f16_e32 v0, v32, v14
	v_pack_b32_f16 v0, v0, v2
	v_add_co_u32 v2, vcc_lo, v11, s2
	s_wait_alu 0xfffd
	v_add_co_ci_u32_e32 v3, vcc_lo, s3, v12, vcc_lo
	ds_store_2addr_b32 v141, v4, v0 offset0:2 offset1:245
	v_add_co_u32 v4, vcc_lo, v2, s8
	s_wait_alu 0xfffd
	v_add_co_ci_u32_e32 v5, vcc_lo, s9, v3, vcc_lo
	global_load_b32 v0, v[11:12], off
	v_add_co_u32 v6, vcc_lo, v4, s2
	s_wait_alu 0xfffd
	v_add_co_ci_u32_e32 v7, vcc_lo, s3, v5, vcc_lo
	s_delay_alu instid0(VALU_DEP_2)
	v_add_co_u32 v8, vcc_lo, v6, s2
	global_load_b32 v6, v[6:7], off
	global_load_b32 v11, v120, s[4:5] offset:15552
	s_wait_alu 0xfffd
	v_add_co_ci_u32_e32 v9, vcc_lo, s3, v7, vcc_lo
	s_wait_loadcnt 0x2
	v_lshrrev_b32_e32 v7, 16, v0
	s_wait_loadcnt 0x0
	v_lshrrev_b32_e32 v12, 16, v11
	s_clause 0x1
	scratch_store_b32 off, v11, off offset:32
	scratch_store_b32 off, v12, off offset:36
	v_mul_f16_e32 v10, v12, v0
	s_delay_alu instid0(VALU_DEP_1)
	v_fma_f16 v10, v11, v7, -v10
	v_mul_f16_e32 v7, v12, v7
	v_lshrrev_b32_e32 v12, 16, v30
	scratch_store_b32 off, v30, off offset:8 ; 4-byte Folded Spill
	v_fmac_f16_e32 v7, v11, v0
	scratch_store_b32 off, v12, off offset:12 ; 4-byte Folded Spill
	v_lshrrev_b32_e32 v0, 16, v6
	v_mul_f16_e32 v11, v12, v6
	s_delay_alu instid0(VALU_DEP_1) | instskip(SKIP_1) | instid1(VALU_DEP_1)
	v_fma_f16 v11, v30, v0, -v11
	v_mul_f16_e32 v0, v12, v0
	v_fmac_f16_e32 v0, v30, v6
	v_pack_b32_f16 v6, v7, v10
	v_lshrrev_b32_e32 v7, 16, v17
	s_delay_alu instid0(VALU_DEP_3)
	v_pack_b32_f16 v0, v0, v11
	ds_store_2addr_b32 v139, v6, v0 offset1:243
	global_load_b32 v0, v[2:3], off
	global_load_b32 v2, v[8:9], off
	v_lshrrev_b32_e32 v8, 16, v16
	s_clause 0x1
	scratch_store_b32 off, v7, off offset:28
	scratch_store_b32 off, v16, off
	s_load_b128 s[8:11], s[10:11], 0x0
	scratch_store_b32 off, v8, off offset:4 ; 4-byte Folded Spill
	s_wait_kmcnt 0x0
	s_mul_u64 s[14:15], s[8:9], 0x222c
	s_wait_loadcnt 0x1
	v_lshrrev_b32_e32 v3, 16, v0
	v_mul_f16_e32 v6, v7, v0
	s_delay_alu instid0(VALU_DEP_1) | instskip(SKIP_3) | instid1(VALU_DEP_2)
	v_fma_f16 v6, v17, v3, -v6
	v_mul_f16_e32 v3, v7, v3
	s_wait_loadcnt 0x0
	v_mul_f16_e32 v7, v8, v2
	v_fmac_f16_e32 v3, v17, v0
	v_lshrrev_b32_e32 v0, 16, v2
	s_delay_alu instid0(VALU_DEP_1) | instskip(SKIP_1) | instid1(VALU_DEP_1)
	v_fma_f16 v7, v16, v0, -v7
	v_mul_f16_e32 v0, v8, v0
	v_fmac_f16_e32 v0, v16, v2
	v_pack_b32_f16 v2, v3, v6
	v_add_nc_u32_e32 v3, 0x5ec0, v120
	s_delay_alu instid0(VALU_DEP_3) | instskip(NEXT) | instid1(VALU_DEP_2)
	v_pack_b32_f16 v0, v0, v7
	v_mov_b32_e32 v173, v3
	ds_store_2addr_b32 v3, v2, v0 offset0:11 offset1:254
	global_load_b32 v0, v[4:5], off
	v_lshrrev_b32_e32 v4, 16, v31
	s_clause 0x2
	scratch_store_b32 off, v31, off offset:16
	scratch_store_b32 off, v17, off offset:24
	;; [unrolled: 1-line block ×3, first 2 shown]
	s_wait_loadcnt 0x0
	v_lshrrev_b32_e32 v2, 16, v0
	v_mul_f16_e32 v3, v4, v0
	s_delay_alu instid0(VALU_DEP_1) | instskip(SKIP_1) | instid1(VALU_DEP_1)
	v_fma_f16 v3, v31, v2, -v3
	v_mul_f16_e32 v2, v4, v2
	v_fmac_f16_e32 v2, v31, v0
	s_delay_alu instid0(VALU_DEP_1)
	v_pack_b32_f16 v0, v2, v3
	ds_store_b32 v120, v0 offset:7776
	global_wb scope:SCOPE_SE
	s_wait_storecnt_dscnt 0x0
	s_barrier_signal -1
	s_barrier_wait -1
	global_inv scope:SCOPE_SE
	ds_load_2addr_b32 v[4:5], v185 offset0:6 offset1:249
	ds_load_2addr_b32 v[2:3], v176 offset0:6 offset1:249
	ds_load_2addr_b32 v[7:8], v120 offset1:243
	s_wait_dscnt 0x2
	v_lshrrev_b32_e32 v23, 16, v5
	s_wait_dscnt 0x1
	v_add_f16_e32 v0, v2, v5
	s_wait_dscnt 0x0
	v_lshrrev_b32_e32 v13, 16, v8
	v_add_f16_e32 v6, v8, v2
	v_lshrrev_b32_e32 v31, 16, v7
	v_fmac_f16_e32 v8, -0.5, v0
	ds_load_b32 v0, v120 offset:25272
	ds_load_2addr_b32 v[9:10], v139 offset1:243
	ds_load_2addr_b32 v[11:12], v186 offset0:8 offset1:251
	v_add_f16_e32 v34, v6, v5
	s_wait_dscnt 0x2
	v_lshrrev_b32_e32 v26, 16, v0
	s_wait_dscnt 0x1
	v_add_f16_e32 v14, v10, v0
	s_wait_dscnt 0x0
	v_lshrrev_b32_e32 v15, 16, v11
	v_add_f16_e32 v22, v11, v10
	v_sub_f16_e32 v33, v12, v4
	v_fmac_f16_e32 v11, -0.5, v14
	v_lshrrev_b32_e32 v14, 16, v2
	v_sub_f16_e32 v2, v2, v5
	s_delay_alu instid0(VALU_DEP_2) | instskip(SKIP_1) | instid1(VALU_DEP_2)
	v_sub_f16_e32 v16, v14, v23
	v_add_f16_e32 v25, v13, v14
	v_fmamk_f16 v24, v16, 0x3aee, v8
	v_fmac_f16_e32 v8, 0xbaee, v16
	v_add_f16_e32 v16, v14, v23
	v_lshrrev_b32_e32 v14, 16, v10
	v_add_f16_e32 v23, v25, v23
	s_delay_alu instid0(VALU_DEP_3) | instskip(NEXT) | instid1(VALU_DEP_3)
	v_fmac_f16_e32 v13, -0.5, v16
	v_add_f16_e32 v16, v14, v26
	v_add_f16_e32 v27, v15, v14
	v_sub_f16_e32 v14, v14, v26
	v_pack_b32_f16 v23, v34, v23
	v_fmamk_f16 v29, v2, 0xbaee, v13
	v_fmac_f16_e32 v15, -0.5, v16
	v_fmac_f16_e32 v13, 0x3aee, v2
	v_sub_f16_e32 v2, v10, v0
	v_add_f16_e32 v10, v7, v12
	v_fmamk_f16 v28, v14, 0x3aee, v11
	v_fmac_f16_e32 v11, 0xbaee, v14
	v_pack_b32_f16 v8, v8, v13
	v_fmamk_f16 v30, v2, 0xbaee, v15
	v_fmac_f16_e32 v15, 0x3aee, v2
	v_add_f16_e32 v2, v12, v4
	v_add_f16_e32 v10, v10, v4
	v_lshrrev_b32_e32 v4, 16, v4
	v_pack_b32_f16 v24, v24, v29
	v_pack_b32_f16 v32, v11, v15
	v_fma_f16 v2, -0.5, v2, v7
	v_lshrrev_b32_e32 v7, 16, v12
	v_add_f16_e32 v0, v22, v0
	s_delay_alu instid0(VALU_DEP_2) | instskip(SKIP_2) | instid1(VALU_DEP_3)
	v_add_f16_e32 v5, v31, v7
	v_add_f16_e32 v6, v7, v4
	v_sub_f16_e32 v35, v7, v4
	v_add_f16_e32 v5, v5, v4
	s_delay_alu instid0(VALU_DEP_3) | instskip(NEXT) | instid1(VALU_DEP_3)
	v_fmac_f16_e32 v31, -0.5, v6
	v_fmamk_f16 v4, v35, 0x3aee, v2
	v_fmac_f16_e32 v2, 0xbaee, v35
	s_delay_alu instid0(VALU_DEP_4) | instskip(NEXT) | instid1(VALU_DEP_4)
	v_pack_b32_f16 v36, v10, v5
	v_fmamk_f16 v5, v33, 0xbaee, v31
	v_fmac_f16_e32 v31, 0x3aee, v33
	s_delay_alu instid0(VALU_DEP_2) | instskip(SKIP_1) | instid1(VALU_DEP_3)
	v_pack_b32_f16 v37, v4, v5
	v_mul_lo_u16 v4, v1, 3
	v_pack_b32_f16 v2, v2, v31
	s_delay_alu instid0(VALU_DEP_2) | instskip(NEXT) | instid1(VALU_DEP_1)
	v_and_b32_e32 v4, 0xffff, v4
	v_lshlrev_b32_e32 v38, 2, v4
	scratch_store_b32 off, v38, off offset:208 ; 4-byte Folded Spill
	ds_load_2addr_b32 v[4:5], v171 offset0:6 offset1:249
	ds_load_2addr_b32 v[6:7], v179 offset0:12 offset1:255
	;; [unrolled: 1-line block ×8, first 2 shown]
	global_wb scope:SCOPE_SE
	s_wait_storecnt_dscnt 0x0
	s_barrier_signal -1
	s_barrier_wait -1
	global_inv scope:SCOPE_SE
	ds_store_2addr_b32 v38, v36, v37 offset1:1
	ds_store_b32 v38, v2 offset:8
	v_mul_u32_u24_e32 v2, 3, v83
	s_delay_alu instid0(VALU_DEP_1)
	v_lshlrev_b32_e32 v2, 2, v2
	v_lshrrev_b32_e32 v29, 16, v5
	v_lshrrev_b32_e32 v33, 16, v7
	v_add_f16_e32 v25, v10, v7
	v_add_f16_e32 v31, v5, v10
	v_mov_b32_e32 v36, v2
	ds_store_2addr_b32 v2, v23, v24 offset1:1
	v_add_f16_e32 v23, v4, v3
	v_fmac_f16_e32 v5, -0.5, v25
	v_lshrrev_b32_e32 v25, 16, v10
	ds_store_b32 v36, v8 offset:8
	v_sub_f16_e32 v10, v10, v7
	v_add_f16_e32 v2, v3, v6
	v_lshrrev_b32_e32 v24, 16, v3
	v_sub_f16_e32 v34, v25, v33
	v_sub_f16_e32 v3, v3, v6
	v_add_f16_e32 v7, v31, v7
	v_fma_f16 v2, -0.5, v2, v4
	v_lshrrev_b32_e32 v4, 16, v4
	v_fmamk_f16 v35, v34, 0x3aee, v5
	v_fmac_f16_e32 v5, 0xbaee, v34
	v_add_f16_e32 v34, v25, v33
	v_add_f16_e32 v25, v29, v25
	s_delay_alu instid0(VALU_DEP_2) | instskip(NEXT) | instid1(VALU_DEP_1)
	v_fmac_f16_e32 v29, -0.5, v34
	v_fmamk_f16 v34, v10, 0xbaee, v29
	v_fmac_f16_e32 v29, 0x3aee, v10
	v_add_f16_e32 v10, v23, v6
	v_lshrrev_b32_e32 v6, 16, v6
	s_delay_alu instid0(VALU_DEP_3) | instskip(SKIP_1) | instid1(VALU_DEP_3)
	v_pack_b32_f16 v5, v5, v29
	v_add_f16_e32 v29, v4, v24
	v_add_f16_e32 v23, v24, v6
	s_delay_alu instid0(VALU_DEP_1) | instskip(SKIP_1) | instid1(VALU_DEP_4)
	v_fmac_f16_e32 v4, -0.5, v23
	v_sub_f16_e32 v23, v24, v6
	v_add_f16_e32 v6, v29, v6
	s_delay_alu instid0(VALU_DEP_2)
	v_fmamk_f16 v24, v23, 0x3aee, v2
	v_fmac_f16_e32 v2, 0xbaee, v23
	v_fmamk_f16 v23, v3, 0xbaee, v4
	v_fmac_f16_e32 v4, 0x3aee, v3
	v_pack_b32_f16 v3, v10, v6
	v_add_f16_e32 v10, v13, v16
	s_delay_alu instid0(VALU_DEP_4) | instskip(NEXT) | instid1(VALU_DEP_4)
	v_pack_b32_f16 v6, v24, v23
	v_pack_b32_f16 v2, v2, v4
	v_mul_u32_u24_e32 v4, 3, v82
	s_delay_alu instid0(VALU_DEP_4) | instskip(NEXT) | instid1(VALU_DEP_2)
	v_add_f16_e32 v10, v10, v15
	v_lshlrev_b32_e32 v8, 2, v4
	v_pack_b32_f16 v4, v35, v34
	s_clause 0x1
	scratch_store_b32 off, v36, off offset:216
	scratch_store_b32 off, v8, off offset:212
	ds_store_2addr_b32 v8, v3, v6 offset1:1
	ds_store_b32 v8, v2 offset:8
	v_add_f16_e32 v3, v25, v33
	v_mul_u32_u24_e32 v2, 3, v88
	v_sub_f16_e32 v6, v11, v14
	v_lshrrev_b32_e32 v8, 16, v13
	s_delay_alu instid0(VALU_DEP_4) | instskip(NEXT) | instid1(VALU_DEP_4)
	v_pack_b32_f16 v3, v7, v3
	v_lshlrev_b32_e32 v2, 2, v2
	v_add_f16_e32 v7, v16, v15
	s_delay_alu instid0(VALU_DEP_2)
	v_mov_b32_e32 v25, v2
	ds_store_2addr_b32 v2, v3, v4 offset1:1
	v_add_f16_e32 v2, v11, v14
	v_add_f16_e32 v3, v12, v11
	v_lshrrev_b32_e32 v4, 16, v11
	ds_store_b32 v25, v5 offset:8
	v_fmac_f16_e32 v13, -0.5, v7
	v_lshrrev_b32_e32 v7, 16, v16
	v_lshrrev_b32_e32 v11, 16, v15
	v_sub_f16_e32 v16, v16, v15
	v_add_f16_e32 v3, v3, v14
	v_lshrrev_b32_e32 v14, 16, v14
	v_fma_f16 v2, -0.5, v2, v12
	v_sub_f16_e32 v23, v7, v11
	v_lshrrev_b32_e32 v12, 16, v12
	v_mul_u32_u24_e32 v5, 3, v113
	s_delay_alu instid0(VALU_DEP_3)
	v_fmamk_f16 v24, v23, 0x3aee, v13
	v_fmac_f16_e32 v13, 0xbaee, v23
	v_add_f16_e32 v23, v7, v11
	v_add_f16_e32 v7, v8, v7
	;; [unrolled: 1-line block ×3, first 2 shown]
	v_lshlrev_b32_e32 v5, 2, v5
	s_delay_alu instid0(VALU_DEP_4) | instskip(SKIP_3) | instid1(VALU_DEP_1)
	v_fmac_f16_e32 v8, -0.5, v23
	scratch_store_b32 off, v5, off offset:220 ; 4-byte Folded Spill
	v_fmamk_f16 v23, v16, 0xbaee, v8
	v_fmac_f16_e32 v8, 0x3aee, v16
	v_pack_b32_f16 v8, v13, v8
	v_add_f16_e32 v13, v4, v14
	v_sub_f16_e32 v4, v4, v14
	s_delay_alu instid0(VALU_DEP_2) | instskip(SKIP_1) | instid1(VALU_DEP_3)
	v_fmac_f16_e32 v12, -0.5, v13
	v_add_f16_e32 v13, v15, v14
	v_fmamk_f16 v14, v4, 0x3aee, v2
	v_fmac_f16_e32 v2, 0xbaee, v4
	s_delay_alu instid0(VALU_DEP_4) | instskip(SKIP_3) | instid1(VALU_DEP_4)
	v_fmamk_f16 v4, v6, 0xbaee, v12
	v_fmac_f16_e32 v12, 0x3aee, v6
	v_pack_b32_f16 v3, v3, v13
	v_add_f16_e32 v6, v9, v21
	v_pack_b32_f16 v4, v14, v4
	s_delay_alu instid0(VALU_DEP_4)
	v_pack_b32_f16 v2, v2, v12
	v_lshrrev_b32_e32 v14, 16, v18
	ds_store_2addr_b32 v5, v3, v4 offset1:1
	ds_store_b32 v5, v2 offset:8
	v_add_f16_e32 v3, v7, v11
	v_lshrrev_b32_e32 v7, 16, v9
	v_lshrrev_b32_e32 v11, 16, v19
	v_mul_u32_u24_e32 v2, 3, v111
	v_pack_b32_f16 v4, v24, v23
	v_pack_b32_f16 v3, v10, v3
	v_add_f16_e32 v10, v19, v9
	v_fmac_f16_e32 v19, -0.5, v6
	v_lshrrev_b32_e32 v6, 16, v21
	v_lshlrev_b32_e32 v2, 2, v2
	v_sub_f16_e32 v9, v9, v21
	v_add_f16_e32 v13, v11, v7
	v_sub_f16_e32 v5, v17, v20
	v_add_f16_e32 v12, v7, v6
	v_sub_f16_e32 v7, v7, v6
	v_mov_b32_e32 v23, v2
	ds_store_2addr_b32 v2, v3, v4 offset1:1
	v_lshrrev_b32_e32 v2, 16, v17
	v_fmac_f16_e32 v11, -0.5, v12
	v_fmamk_f16 v12, v7, 0x3aee, v19
	ds_store_b32 v23, v8 offset:8
	v_fmac_f16_e32 v19, 0xbaee, v7
	v_add_f16_e32 v4, v17, v20
	v_fmamk_f16 v7, v9, 0xbaee, v11
	v_fmac_f16_e32 v11, 0x3aee, v9
	v_add_f16_e32 v9, v10, v21
	v_lshrrev_b32_e32 v10, 16, v20
	v_add_f16_e32 v3, v18, v17
	v_fma_f16 v4, -0.5, v4, v18
	v_add_f16_e32 v16, v14, v2
	v_pack_b32_f16 v11, v19, v11
	v_add_f16_e32 v15, v2, v10
	v_sub_f16_e32 v2, v2, v10
	v_add_f16_e32 v3, v3, v20
	v_add_f16_e32 v10, v16, v10
	s_delay_alu instid0(VALU_DEP_4) | instskip(NEXT) | instid1(VALU_DEP_4)
	v_fmac_f16_e32 v14, -0.5, v15
	v_fmamk_f16 v15, v2, 0x3aee, v4
	v_fmac_f16_e32 v4, 0xbaee, v2
	s_delay_alu instid0(VALU_DEP_4) | instskip(NEXT) | instid1(VALU_DEP_4)
	v_pack_b32_f16 v3, v3, v10
	v_fmamk_f16 v2, v5, 0xbaee, v14
	v_fmac_f16_e32 v14, 0x3aee, v5
	v_mul_u32_u24_e32 v5, 3, v112
	s_delay_alu instid0(VALU_DEP_3) | instskip(NEXT) | instid1(VALU_DEP_3)
	v_pack_b32_f16 v2, v15, v2
	v_pack_b32_f16 v4, v4, v14
	s_delay_alu instid0(VALU_DEP_3)
	v_lshlrev_b32_e32 v5, 2, v5
	ds_store_2addr_b32 v5, v3, v2 offset1:1
	ds_store_b32 v5, v4 offset:8
	v_add_f16_e32 v2, v13, v6
	v_mul_u32_u24_e32 v4, 3, v110
	v_pack_b32_f16 v3, v12, v7
	s_delay_alu instid0(VALU_DEP_3) | instskip(NEXT) | instid1(VALU_DEP_3)
	v_pack_b32_f16 v2, v9, v2
	v_lshlrev_b32_e32 v4, 2, v4
	v_add_co_u32 v9, null, 0x798, v174
	ds_store_2addr_b32 v4, v2, v3 offset1:1
	ds_store_b32 v4, v11 offset:8
	v_add_f16_e32 v2, v27, v26
	v_pack_b32_f16 v3, v28, v30
	scratch_store_b32 off, v4, off offset:232 ; 4-byte Folded Spill
	v_and_b32_e32 v89, 0xffff, v9
	v_pack_b32_f16 v0, v0, v2
	v_mul_u32_u24_e32 v2, 3, v9
	s_delay_alu instid0(VALU_DEP_1)
	v_lshlrev_b32_e32 v2, 2, v2
	s_clause 0x3
	scratch_store_b32 off, v25, off offset:228
	scratch_store_b32 off, v23, off offset:240
	;; [unrolled: 1-line block ×4, first 2 shown]
	ds_store_2addr_b32 v2, v0, v3 offset1:1
	ds_store_b32 v2, v32 offset:8
	v_mul_u32_u24_e32 v0, 0xaaab, v56
	v_mul_u32_u24_e32 v3, 0xaaab, v74
	global_wb scope:SCOPE_SE
	s_wait_storecnt_dscnt 0x0
	s_barrier_signal -1
	s_barrier_wait -1
	v_lshrrev_b32_e32 v25, 17, v0
	v_mul_lo_u16 v0, 0xab, v57
	v_lshrrev_b32_e32 v3, 17, v3
	global_inv scope:SCOPE_SE
	v_lshrrev_b16 v10, 9, v0
	v_mul_lo_u16 v0, v25, 3
	v_mul_lo_u16 v5, v3, 3
	s_delay_alu instid0(VALU_DEP_2) | instskip(NEXT) | instid1(VALU_DEP_4)
	v_sub_nc_u16 v26, v83, v0
	v_mul_lo_u16 v0, v10, 3
	s_delay_alu instid0(VALU_DEP_3) | instskip(SKIP_1) | instid1(VALU_DEP_4)
	v_sub_nc_u16 v5, v88, v5
	v_and_b32_e32 v10, 0xffff, v10
	v_lshlrev_b16 v2, 1, v26
	s_delay_alu instid0(VALU_DEP_4) | instskip(NEXT) | instid1(VALU_DEP_4)
	v_sub_nc_u16 v0, v1, v0
	v_lshlrev_b16 v7, 1, v5
	s_delay_alu instid0(VALU_DEP_4)
	v_mul_u32_u24_e32 v10, 9, v10
	v_mad_u16 v3, v3, 9, v5
	v_and_b32_e32 v2, 0xffff, v2
	v_and_b32_e32 v11, 0xff, v0
	v_mul_u32_u24_e32 v0, 0xaaab, v75
	v_and_b32_e32 v7, 0xffff, v7
	v_and_b32_e32 v3, 0xffff, v3
	v_lshlrev_b32_e32 v2, 2, v2
	v_lshlrev_b32_e32 v8, 3, v11
	v_lshrrev_b32_e32 v0, 17, v0
	v_lshlrev_b32_e32 v7, 2, v7
	v_add_lshl_u32 v52, v10, v11, 2
	v_mul_u32_u24_e32 v11, 0xaaab, v76
	v_lshlrev_b32_e32 v3, 2, v3
	v_mul_lo_u16 v4, v0, 3
	s_delay_alu instid0(VALU_DEP_3) | instskip(NEXT) | instid1(VALU_DEP_2)
	v_lshrrev_b32_e32 v11, 17, v11
	v_sub_nc_u16 v4, v82, v4
	s_delay_alu instid0(VALU_DEP_1) | instskip(SKIP_1) | instid1(VALU_DEP_2)
	v_lshlrev_b16 v6, 1, v4
	v_mad_u16 v0, v0, 9, v4
	v_and_b32_e32 v6, 0xffff, v6
	s_delay_alu instid0(VALU_DEP_2) | instskip(NEXT) | instid1(VALU_DEP_2)
	v_and_b32_e32 v0, 0xffff, v0
	v_lshlrev_b32_e32 v6, 2, v6
	s_clause 0x3
	global_load_b64 v[252:253], v8, s[6:7]
	global_load_b64 v[254:255], v2, s[6:7]
	;; [unrolled: 1-line block ×4, first 2 shown]
	ds_load_2addr_b32 v[12:13], v185 offset0:6 offset1:249
	ds_load_2addr_b32 v[29:30], v176 offset0:6 offset1:249
	;; [unrolled: 1-line block ×3, first 2 shown]
	s_wait_dscnt 0x2
	v_lshrrev_b32_e32 v2, 16, v12
	v_lshrrev_b32_e32 v7, 16, v13
	s_wait_loadcnt 0x3
	v_lshrrev_b32_e32 v16, 16, v253
	s_wait_loadcnt 0x2
	v_lshrrev_b32_e32 v14, 16, v255
	v_lshrrev_b32_e32 v24, 16, v252
	s_delay_alu instid0(VALU_DEP_3) | instskip(NEXT) | instid1(VALU_DEP_3)
	v_mul_f16_e32 v6, v2, v16
	v_mul_f16_e32 v8, v7, v14
	;; [unrolled: 1-line block ×4, first 2 shown]
	s_delay_alu instid0(VALU_DEP_4) | instskip(SKIP_1) | instid1(VALU_DEP_4)
	v_fma_f16 v6, v12, v253, -v6
	v_lshrrev_b32_e32 v12, 16, v254
	v_fmac_f16_e64 v14, v7, v255
	s_wait_dscnt 0x1
	v_lshrrev_b32_e32 v7, 16, v29
	v_fma_f16 v8, v13, v255, -v8
	v_fmac_f16_e64 v15, v2, v253
	v_mul_f16_e32 v16, v29, v12
	s_delay_alu instid0(VALU_DEP_1) | instskip(SKIP_3) | instid1(VALU_DEP_1)
	v_fmac_f16_e64 v16, v7, v254
	v_mul_f16_e32 v7, v7, v12
	ds_load_2addr_b32 v[12:13], v120 offset1:243
	v_fma_f16 v7, v29, v254, -v7
	v_add_f16_e32 v17, v7, v8
	s_wait_dscnt 0x0
	v_lshrrev_b32_e32 v18, 16, v13
	v_add_f16_e32 v19, v13, v7
	s_delay_alu instid0(VALU_DEP_3) | instskip(SKIP_4) | instid1(VALU_DEP_4)
	v_fmac_f16_e32 v13, -0.5, v17
	v_add_f16_e32 v17, v16, v14
	v_sub_f16_e32 v7, v7, v8
	v_add_f16_e32 v45, v18, v16
	v_sub_f16_e32 v16, v16, v14
	v_fmac_f16_e32 v18, -0.5, v17
	s_delay_alu instid0(VALU_DEP_2) | instskip(SKIP_1) | instid1(VALU_DEP_3)
	v_fmamk_f16 v17, v16, 0x3aee, v13
	v_fmac_f16_e32 v13, 0xbaee, v16
	v_fmamk_f16 v16, v7, 0xbaee, v18
	v_fmac_f16_e32 v18, 0x3aee, v7
	v_lshrrev_b32_e32 v7, 16, v21
	s_delay_alu instid0(VALU_DEP_2) | instskip(NEXT) | instid1(VALU_DEP_2)
	v_pack_b32_f16 v13, v13, v18
	v_mul_f16_e32 v22, v7, v24
	v_lshrrev_b32_e32 v18, 16, v12
	s_delay_alu instid0(VALU_DEP_2) | instskip(SKIP_1) | instid1(VALU_DEP_2)
	v_fma_f16 v22, v21, v252, -v22
	v_mul_f16_e32 v21, v21, v24
	v_add_f16_e32 v23, v22, v6
	s_delay_alu instid0(VALU_DEP_2) | instskip(SKIP_1) | instid1(VALU_DEP_3)
	v_fmac_f16_e64 v21, v7, v252
	v_sub_f16_e32 v2, v22, v6
	v_fma_f16 v46, -0.5, v23, v12
	v_add_f16_e32 v12, v12, v22
	s_delay_alu instid0(VALU_DEP_4) | instskip(SKIP_1) | instid1(VALU_DEP_3)
	v_add_f16_e32 v7, v18, v21
	v_sub_f16_e32 v47, v21, v15
	v_add_f16_e32 v6, v12, v6
	v_add_f16_e32 v12, v21, v15
	s_delay_alu instid0(VALU_DEP_4) | instskip(SKIP_2) | instid1(VALU_DEP_4)
	v_add_f16_e32 v7, v7, v15
	v_mul_u32_u24_e32 v21, 0xaaab, v89
	v_mul_u32_u24_e32 v15, 0xaaab, v94
	v_fmac_f16_e32 v18, -0.5, v12
	s_delay_alu instid0(VALU_DEP_4)
	v_pack_b32_f16 v6, v6, v7
	v_fmamk_f16 v7, v47, 0x3aee, v46
	v_mul_u32_u24_e32 v12, 0xaaab, v95
	v_lshrrev_b32_e32 v27, 17, v21
	v_fmamk_f16 v10, v2, 0xbaee, v18
	v_lshrrev_b32_e32 v15, 17, v15
	v_fmac_f16_e32 v46, 0xbaee, v47
	v_lshrrev_b32_e32 v12, 17, v12
	v_fmac_f16_e32 v18, 0x3aee, v2
	v_pack_b32_f16 v7, v7, v10
	v_mul_u32_u24_e32 v10, 0xaaab, v77
	v_add_f16_e32 v2, v19, v8
	v_mad_u16 v8, v25, 9, v26
	s_wait_loadcnt 0x1
	v_lshrrev_b32_e32 v25, 16, v138
	s_wait_loadcnt 0x0
	v_lshrrev_b32_e32 v26, 16, v135
	v_lshrrev_b32_e32 v10, 17, v10
	s_delay_alu instid0(VALU_DEP_1) | instskip(NEXT) | instid1(VALU_DEP_1)
	v_mul_lo_u16 v21, v10, 3
	v_sub_nc_u16 v48, v113, v21
	v_mul_lo_u16 v21, v11, 3
	s_delay_alu instid0(VALU_DEP_1) | instskip(SKIP_1) | instid1(VALU_DEP_2)
	v_sub_nc_u16 v49, v111, v21
	v_mul_lo_u16 v21, v12, 3
	v_lshlrev_b16 v22, 1, v49
	s_delay_alu instid0(VALU_DEP_2) | instskip(SKIP_1) | instid1(VALU_DEP_3)
	v_sub_nc_u16 v50, v112, v21
	v_mul_lo_u16 v21, v15, 3
	v_and_b32_e32 v22, 0xffff, v22
	s_delay_alu instid0(VALU_DEP_3) | instskip(NEXT) | instid1(VALU_DEP_3)
	v_lshlrev_b16 v23, 1, v50
	v_sub_nc_u16 v51, v110, v21
	v_mul_lo_u16 v21, v27, 3
	s_delay_alu instid0(VALU_DEP_4) | instskip(NEXT) | instid1(VALU_DEP_4)
	v_lshlrev_b32_e32 v22, 2, v22
	v_and_b32_e32 v23, 0xffff, v23
	s_delay_alu instid0(VALU_DEP_4) | instskip(NEXT) | instid1(VALU_DEP_4)
	v_lshlrev_b16 v24, 1, v51
	v_sub_nc_u16 v28, v9, v21
	v_lshlrev_b16 v21, 1, v48
	s_delay_alu instid0(VALU_DEP_4) | instskip(NEXT) | instid1(VALU_DEP_4)
	v_lshlrev_b32_e32 v23, 2, v23
	v_and_b32_e32 v24, 0xffff, v24
	s_delay_alu instid0(VALU_DEP_4) | instskip(NEXT) | instid1(VALU_DEP_4)
	v_lshlrev_b16 v29, 1, v28
	v_and_b32_e32 v21, 0xffff, v21
	s_delay_alu instid0(VALU_DEP_3) | instskip(NEXT) | instid1(VALU_DEP_3)
	v_lshlrev_b32_e32 v24, 2, v24
	v_and_b32_e32 v29, 0xffff, v29
	s_delay_alu instid0(VALU_DEP_3) | instskip(NEXT) | instid1(VALU_DEP_2)
	v_lshlrev_b32_e32 v21, 2, v21
	v_lshlrev_b32_e32 v29, 2, v29
	s_clause 0x4
	global_load_b64 v[131:132], v21, s[6:7]
	global_load_b64 v[129:130], v22, s[6:7]
	;; [unrolled: 1-line block ×5, first 2 shown]
	ds_load_b32 v29, v120 offset:25272
	ds_load_2addr_b32 v[31:32], v179 offset0:12 offset1:255
	ds_load_2addr_b32 v[33:34], v160 offset0:4 offset1:247
	;; [unrolled: 1-line block ×8, first 2 shown]
	ds_load_2addr_b32 v[21:22], v139 offset1:243
	global_wb scope:SCOPE_SE
	s_wait_loadcnt_dscnt 0x0
	s_barrier_signal -1
	s_barrier_wait -1
	global_inv scope:SCOPE_SE
	ds_store_2addr_b32 v52, v6, v7 offset1:3
	v_add_f16_e32 v6, v45, v14
	v_pack_b32_f16 v7, v46, v18
	v_lshrrev_b32_e32 v18, 16, v136
	s_delay_alu instid0(VALU_DEP_3)
	v_pack_b32_f16 v2, v2, v6
	v_pack_b32_f16 v6, v17, v16
	v_lshrrev_b32_e32 v16, 16, v32
	ds_store_b32 v52, v7 offset:24
	v_and_b32_e32 v7, 0xffff, v8
	v_lshrrev_b32_e32 v8, 16, v31
	v_mul_f16_e32 v19, v31, v25
	v_mul_f16_e32 v17, v16, v18
	v_mul_f16_e32 v18, v32, v18
	v_lshlrev_b32_e32 v7, 2, v7
	v_mul_f16_e32 v14, v8, v25
	v_mul_f16_e32 v25, v33, v26
	v_fma_f16 v17, v32, v136, -v17
	v_fmac_f16_e64 v18, v16, v136
	v_lshrrev_b32_e32 v16, 16, v33
	ds_store_2addr_b32 v7, v2, v6 offset1:3
	v_mov_b32_e32 v45, v7
	v_lshrrev_b32_e32 v2, 16, v30
	v_lshrrev_b32_e32 v7, 16, v137
	v_fmac_f16_e64 v25, v16, v135
	v_mul_f16_e32 v16, v16, v26
	v_fma_f16 v14, v31, v138, -v14
	v_fmac_f16_e64 v19, v8, v138
	v_mul_f16_e32 v6, v2, v7
	v_mul_f16_e32 v7, v30, v7
	v_fma_f16 v16, v33, v135, -v16
	v_lshrrev_b32_e32 v33, 16, v35
	ds_store_b32 v45, v13 offset:24
	v_fma_f16 v6, v30, v137, -v6
	v_lshrrev_b32_e32 v30, 16, v36
	v_add_f16_e32 v26, v16, v17
	v_add_f16_e32 v31, v36, v16
	v_sub_f16_e32 v16, v16, v17
	v_fmac_f16_e64 v7, v2, v137
	v_add_f16_e32 v32, v30, v25
	v_fmac_f16_e32 v36, -0.5, v26
	v_add_f16_e32 v26, v25, v18
	v_sub_f16_e32 v25, v25, v18
	v_sub_f16_e32 v2, v6, v14
	v_add_f16_e32 v8, v33, v7
	v_mov_b32_e32 v13, v3
	v_fmac_f16_e32 v30, -0.5, v26
	v_fmamk_f16 v26, v25, 0x3aee, v36
	v_fmac_f16_e32 v36, 0xbaee, v25
	v_add_f16_e32 v8, v8, v19
	scratch_store_b32 off, v45, off offset:252 ; 4-byte Folded Spill
	v_fmamk_f16 v25, v16, 0xbaee, v30
	v_fmac_f16_e32 v30, 0x3aee, v16
	v_add_f16_e32 v16, v6, v14
	s_delay_alu instid0(VALU_DEP_2) | instskip(NEXT) | instid1(VALU_DEP_2)
	v_pack_b32_f16 v30, v36, v30
	v_fma_f16 v16, -0.5, v16, v35
	v_add_f16_e32 v35, v35, v6
	s_delay_alu instid0(VALU_DEP_1) | instskip(SKIP_2) | instid1(VALU_DEP_3)
	v_add_f16_e32 v6, v35, v14
	v_add_f16_e32 v14, v7, v19
	v_sub_f16_e32 v7, v7, v19
	v_pack_b32_f16 v4, v6, v8
	s_delay_alu instid0(VALU_DEP_3) | instskip(NEXT) | instid1(VALU_DEP_3)
	v_fmac_f16_e32 v33, -0.5, v14
	v_fmamk_f16 v6, v7, 0x3aee, v16
	v_fmac_f16_e32 v16, 0xbaee, v7
	s_delay_alu instid0(VALU_DEP_3) | instskip(SKIP_2) | instid1(VALU_DEP_3)
	v_fmamk_f16 v8, v2, 0xbaee, v33
	v_fmac_f16_e32 v33, 0x3aee, v2
	v_add_f16_e32 v2, v32, v18
	v_pack_b32_f16 v6, v6, v8
	v_lshlrev_b32_e32 v8, 2, v0
	v_add_f16_e32 v0, v31, v17
	s_clause 0x1
	scratch_store_b32 off, v52, off offset:244
	scratch_store_b32 off, v8, off offset:248
	ds_store_2addr_b32 v8, v4, v6 offset1:3
	v_pack_b32_f16 v4, v16, v33
	v_pack_b32_f16 v0, v0, v2
	;; [unrolled: 1-line block ×3, first 2 shown]
	ds_store_b32 v8, v4 offset:24
	v_mad_u16 v4, v10, 9, v48
	ds_store_2addr_b32 v3, v0, v2 offset1:3
	v_lshrrev_b32_e32 v0, 16, v34
	ds_store_b32 v13, v30 offset:24
	v_and_b32_e32 v4, 0xffff, v4
	s_delay_alu instid0(VALU_DEP_1) | instskip(NEXT) | instid1(VALU_DEP_1)
	v_lshlrev_b32_e32 v4, 2, v4
	v_mov_b32_e32 v17, v4
	scratch_store_b32 off, v13, off offset:256 ; 4-byte Folded Spill
	v_lshrrev_b32_e32 v13, 16, v38
	v_lshrrev_b32_e32 v3, 16, v131
	;; [unrolled: 1-line block ×3, first 2 shown]
	s_delay_alu instid0(VALU_DEP_2) | instskip(SKIP_1) | instid1(VALU_DEP_3)
	v_mul_f16_e32 v2, v0, v3
	v_mul_f16_e32 v3, v34, v3
	;; [unrolled: 1-line block ×3, first 2 shown]
	s_delay_alu instid0(VALU_DEP_3) | instskip(NEXT) | instid1(VALU_DEP_3)
	v_fma_f16 v2, v34, v131, -v2
	v_fmac_f16_e64 v3, v0, v131
	v_lshrrev_b32_e32 v0, 16, v39
	s_delay_alu instid0(VALU_DEP_1) | instskip(SKIP_2) | instid1(VALU_DEP_3)
	v_fmac_f16_e64 v5, v0, v132
	v_mul_f16_e32 v0, v0, v6
	v_add_f16_e32 v6, v37, v2
	v_add_f16_e32 v10, v3, v5
	s_delay_alu instid0(VALU_DEP_3) | instskip(NEXT) | instid1(VALU_DEP_1)
	v_fma_f16 v0, v39, v132, -v0
	v_add_f16_e32 v7, v2, v0
	v_sub_f16_e32 v2, v2, v0
	v_add_f16_e32 v0, v6, v0
	v_lshrrev_b32_e32 v6, 16, v37
	s_delay_alu instid0(VALU_DEP_1) | instskip(SKIP_3) | instid1(VALU_DEP_4)
	v_add_f16_e32 v8, v6, v3
	v_sub_f16_e32 v3, v3, v5
	v_fmac_f16_e32 v6, -0.5, v10
	v_lshrrev_b32_e32 v10, 16, v129
	v_add_f16_e32 v8, v8, v5
	v_fma_f16 v5, -0.5, v7, v37
	s_delay_alu instid0(VALU_DEP_2) | instskip(NEXT) | instid1(VALU_DEP_2)
	v_pack_b32_f16 v0, v0, v8
	v_fmamk_f16 v7, v3, 0x3aee, v5
	v_fmamk_f16 v8, v2, 0xbaee, v6
	v_fmac_f16_e32 v5, 0xbaee, v3
	v_fmac_f16_e32 v6, 0x3aee, v2
	s_delay_alu instid0(VALU_DEP_3) | instskip(SKIP_4) | instid1(VALU_DEP_1)
	v_pack_b32_f16 v7, v7, v8
	v_mul_f16_e32 v8, v41, v10
	ds_store_2addr_b32 v4, v0, v7 offset1:3
	v_lshrrev_b32_e32 v0, 16, v40
	v_lshrrev_b32_e32 v7, 16, v130
	v_mul_f16_e32 v4, v0, v7
	v_mul_f16_e32 v7, v40, v7
	s_delay_alu instid0(VALU_DEP_2) | instskip(NEXT) | instid1(VALU_DEP_2)
	v_fma_f16 v4, v40, v130, -v4
	v_fmac_f16_e64 v7, v0, v130
	v_lshrrev_b32_e32 v0, 16, v41
	s_delay_alu instid0(VALU_DEP_1) | instskip(SKIP_1) | instid1(VALU_DEP_2)
	v_fmac_f16_e64 v8, v0, v129
	v_mul_f16_e32 v0, v0, v10
	v_add_f16_e32 v16, v13, v8
	s_delay_alu instid0(VALU_DEP_2) | instskip(NEXT) | instid1(VALU_DEP_2)
	v_fma_f16 v0, v41, v129, -v0
	v_add_f16_e32 v3, v16, v7
	s_delay_alu instid0(VALU_DEP_2) | instskip(SKIP_2) | instid1(VALU_DEP_3)
	v_add_f16_e32 v10, v0, v4
	v_add_f16_e32 v14, v38, v0
	v_sub_f16_e32 v0, v0, v4
	v_fmac_f16_e32 v38, -0.5, v10
	v_add_f16_e32 v10, v8, v7
	v_sub_f16_e32 v8, v8, v7
	v_add_f16_e32 v2, v14, v4
	v_pack_b32_f16 v4, v5, v6
	v_mad_u16 v5, v11, 9, v49
	v_fmac_f16_e32 v13, -0.5, v10
	v_fmamk_f16 v10, v8, 0x3aee, v38
	v_fmac_f16_e32 v38, 0xbaee, v8
	ds_store_b32 v17, v4 offset:24
	v_and_b32_e32 v4, 0xffff, v5
	v_fmamk_f16 v8, v0, 0xbaee, v13
	v_pack_b32_f16 v2, v2, v3
	v_lshrrev_b32_e32 v6, 16, v23
	v_fmac_f16_e32 v13, 0x3aee, v0
	v_lshlrev_b32_e32 v4, 2, v4
	v_pack_b32_f16 v3, v10, v8
	v_lshrrev_b32_e32 v10, 16, v128
	s_delay_alu instid0(VALU_DEP_4) | instskip(NEXT) | instid1(VALU_DEP_4)
	v_pack_b32_f16 v0, v38, v13
	v_mov_b32_e32 v11, v4
	ds_store_2addr_b32 v4, v2, v3 offset1:3
	v_lshrrev_b32_e32 v2, 16, v42
	v_lshrrev_b32_e32 v4, 16, v127
	v_mul_f16_e32 v5, v43, v10
	ds_store_b32 v11, v0 offset:24
	scratch_store_b32 off, v17, off offset:260 ; 4-byte Folded Spill
	v_mul_f16_e32 v3, v2, v4
	v_mul_f16_e32 v4, v42, v4
	s_delay_alu instid0(VALU_DEP_2) | instskip(NEXT) | instid1(VALU_DEP_2)
	v_fma_f16 v3, v42, v127, -v3
	v_fmac_f16_e32 v4, v2, v127
	v_lshrrev_b32_e32 v2, 16, v43
	s_delay_alu instid0(VALU_DEP_2) | instskip(NEXT) | instid1(VALU_DEP_2)
	v_add_f16_e32 v8, v6, v4
	v_fmac_f16_e64 v5, v2, v128
	v_mul_f16_e32 v2, v2, v10
	s_delay_alu instid0(VALU_DEP_2) | instskip(NEXT) | instid1(VALU_DEP_2)
	v_add_f16_e32 v7, v4, v5
	v_fma_f16 v2, v43, v128, -v2
	v_sub_f16_e32 v4, v4, v5
	s_delay_alu instid0(VALU_DEP_3) | instskip(SKIP_1) | instid1(VALU_DEP_4)
	v_fmac_f16_e32 v6, -0.5, v7
	v_add_f16_e32 v7, v23, v3
	v_add_f16_e32 v10, v3, v2
	s_delay_alu instid0(VALU_DEP_2) | instskip(SKIP_3) | instid1(VALU_DEP_2)
	v_add_f16_e32 v7, v7, v2
	v_sub_f16_e32 v2, v3, v2
	v_add_f16_e32 v3, v8, v5
	v_mad_u16 v5, v12, 9, v50
	v_pack_b32_f16 v3, v7, v3
	v_fma_f16 v7, -0.5, v10, v23
	v_fmamk_f16 v10, v2, 0xbaee, v6
	s_delay_alu instid0(VALU_DEP_4)
	v_and_b32_e32 v0, 0xffff, v5
	v_lshrrev_b32_e32 v5, 16, v126
	v_fmac_f16_e32 v6, 0x3aee, v2
	v_fmamk_f16 v8, v4, 0x3aee, v7
	v_fmac_f16_e32 v7, 0xbaee, v4
	v_lshlrev_b32_e32 v0, 2, v0
	v_lshrrev_b32_e32 v4, 16, v125
	s_delay_alu instid0(VALU_DEP_4) | instskip(NEXT) | instid1(VALU_DEP_4)
	v_pack_b32_f16 v8, v8, v10
	v_pack_b32_f16 v6, v7, v6
	s_delay_alu instid0(VALU_DEP_4) | instskip(NEXT) | instid1(VALU_DEP_4)
	v_mov_b32_e32 v12, v0
	v_mul_f16_e32 v2, v21, v4
	scratch_store_b32 off, v11, off offset:264 ; 4-byte Folded Spill
	ds_store_2addr_b32 v0, v3, v8 offset1:3
	v_lshrrev_b32_e32 v0, 16, v44
	v_lshrrev_b32_e32 v8, 16, v24
	ds_store_b32 v12, v6 offset:24
	v_lshrrev_b32_e32 v6, 16, v124
	v_mul_f16_e32 v3, v0, v5
	v_mul_f16_e32 v5, v44, v5
	s_delay_alu instid0(VALU_DEP_2) | instskip(NEXT) | instid1(VALU_DEP_2)
	v_fma_f16 v3, v44, v126, -v3
	v_fmac_f16_e32 v5, v0, v126
	v_lshrrev_b32_e32 v0, 16, v21
	s_delay_alu instid0(VALU_DEP_1) | instskip(SKIP_1) | instid1(VALU_DEP_2)
	v_fmac_f16_e32 v2, v0, v125
	v_mul_f16_e32 v0, v0, v4
	v_add_f16_e32 v11, v8, v2
	s_delay_alu instid0(VALU_DEP_2) | instskip(NEXT) | instid1(VALU_DEP_1)
	v_fma_f16 v0, v21, v125, -v0
	v_add_f16_e32 v4, v0, v3
	v_add_f16_e32 v10, v24, v0
	v_sub_f16_e32 v0, v0, v3
	s_delay_alu instid0(VALU_DEP_3) | instskip(SKIP_2) | instid1(VALU_DEP_2)
	v_fmac_f16_e32 v24, -0.5, v4
	v_add_f16_e32 v4, v2, v5
	v_sub_f16_e32 v2, v2, v5
	v_fmac_f16_e32 v8, -0.5, v4
	v_add_f16_e32 v4, v11, v5
	v_add_f16_e32 v5, v10, v3
	v_mad_u16 v3, v15, 9, v51
	s_delay_alu instid0(VALU_DEP_4) | instskip(SKIP_1) | instid1(VALU_DEP_4)
	v_fmamk_f16 v7, v0, 0xbaee, v8
	v_fmac_f16_e32 v8, 0x3aee, v0
	v_pack_b32_f16 v4, v5, v4
	v_fmamk_f16 v5, v2, 0x3aee, v24
	v_and_b32_e32 v3, 0xffff, v3
	v_fmac_f16_e32 v24, 0xbaee, v2
	v_lshrrev_b32_e32 v2, 16, v22
	s_delay_alu instid0(VALU_DEP_4) | instskip(NEXT) | instid1(VALU_DEP_4)
	v_pack_b32_f16 v5, v5, v7
	v_lshlrev_b32_e32 v3, 2, v3
	s_delay_alu instid0(VALU_DEP_4) | instskip(SKIP_4) | instid1(VALU_DEP_2)
	v_pack_b32_f16 v0, v24, v8
	v_lshrrev_b32_e32 v7, 16, v20
	ds_store_2addr_b32 v3, v4, v5 offset1:3
	v_lshrrev_b32_e32 v4, 16, v123
	v_mov_b32_e32 v11, v3
	v_mul_f16_e32 v3, v2, v4
	v_mul_f16_e32 v4, v22, v4
	ds_store_b32 v11, v0 offset:24
	v_fma_f16 v3, v22, v123, -v3
	v_fmac_f16_e32 v4, v2, v123
	v_lshrrev_b32_e32 v2, 16, v29
	s_delay_alu instid0(VALU_DEP_3) | instskip(NEXT) | instid1(VALU_DEP_3)
	v_add_f16_e32 v8, v20, v3
	v_add_f16_e32 v10, v7, v4
	s_delay_alu instid0(VALU_DEP_3) | instskip(SKIP_1) | instid1(VALU_DEP_2)
	v_mul_f16_e32 v5, v2, v6
	v_mul_f16_e32 v6, v29, v6
	v_fma_f16 v5, v29, v124, -v5
	s_delay_alu instid0(VALU_DEP_2) | instskip(NEXT) | instid1(VALU_DEP_2)
	v_fmac_f16_e32 v6, v2, v124
	v_add_f16_e32 v2, v3, v5
	s_delay_alu instid0(VALU_DEP_1) | instskip(NEXT) | instid1(VALU_DEP_3)
	v_fmac_f16_e32 v20, -0.5, v2
	v_add_f16_e32 v2, v4, v6
	s_delay_alu instid0(VALU_DEP_1) | instskip(SKIP_2) | instid1(VALU_DEP_2)
	v_fmac_f16_e32 v7, -0.5, v2
	v_sub_f16_e32 v2, v4, v6
	v_add_f16_e32 v6, v10, v6
	v_fmamk_f16 v4, v2, 0x3aee, v20
	v_fmac_f16_e32 v20, 0xbaee, v2
	v_sub_f16_e32 v2, v3, v5
	v_add_f16_e32 v5, v8, v5
	s_delay_alu instid0(VALU_DEP_2) | instskip(SKIP_1) | instid1(VALU_DEP_3)
	v_fmamk_f16 v3, v2, 0xbaee, v7
	v_fmac_f16_e32 v7, 0x3aee, v2
	v_pack_b32_f16 v5, v5, v6
	s_delay_alu instid0(VALU_DEP_3) | instskip(NEXT) | instid1(VALU_DEP_3)
	v_pack_b32_f16 v3, v4, v3
	v_pack_b32_f16 v2, v20, v7
	v_mad_u16 v7, v27, 9, v28
	s_delay_alu instid0(VALU_DEP_1) | instskip(NEXT) | instid1(VALU_DEP_1)
	v_and_b32_e32 v0, 0xffff, v7
	v_lshlrev_b32_e32 v0, 2, v0
	s_clause 0x2
	scratch_store_b32 off, v12, off offset:268
	scratch_store_b32 off, v11, off offset:276
	;; [unrolled: 1-line block ×3, first 2 shown]
	ds_store_2addr_b32 v0, v5, v3 offset1:3
	ds_store_b32 v0, v2 offset:24
	v_mul_u32_u24_e32 v0, 0xe38f, v56
	global_wb scope:SCOPE_SE
	s_wait_storecnt_dscnt 0x0
	s_barrier_signal -1
	s_barrier_wait -1
	global_inv scope:SCOPE_SE
	v_lshrrev_b32_e32 v38, 19, v0
	v_mul_lo_u16 v0, v57, 57
	s_delay_alu instid0(VALU_DEP_1) | instskip(NEXT) | instid1(VALU_DEP_3)
	v_lshrrev_b16 v28, 9, v0
	v_mul_lo_u16 v0, v38, 9
	s_delay_alu instid0(VALU_DEP_1) | instskip(NEXT) | instid1(VALU_DEP_3)
	v_sub_nc_u16 v39, v83, v0
	v_mul_lo_u16 v0, v28, 9
	s_delay_alu instid0(VALU_DEP_2) | instskip(NEXT) | instid1(VALU_DEP_2)
	v_lshlrev_b16 v2, 3, v39
	v_sub_nc_u16 v0, v1, v0
	s_delay_alu instid0(VALU_DEP_2) | instskip(NEXT) | instid1(VALU_DEP_2)
	v_and_b32_e32 v2, 0xffff, v2
	v_and_b32_e32 v29, 0xff, v0
	v_mul_u32_u24_e32 v0, 0xe38f, v75
	s_delay_alu instid0(VALU_DEP_3) | instskip(SKIP_1) | instid1(VALU_DEP_3)
	v_add_co_u32 v20, s2, s6, v2
	v_mul_u32_u24_e32 v2, 0xe38f, v74
	v_lshrrev_b32_e32 v0, 19, v0
	s_wait_alu 0xf1ff
	v_add_co_ci_u32_e64 v21, null, s7, 0, s2
	s_delay_alu instid0(VALU_DEP_3) | instskip(NEXT) | instid1(VALU_DEP_3)
	v_lshrrev_b32_e32 v2, 19, v2
	v_mul_lo_u16 v3, v0, 9
	s_delay_alu instid0(VALU_DEP_2) | instskip(NEXT) | instid1(VALU_DEP_2)
	v_mul_lo_u16 v4, v2, 9
	v_sub_nc_u16 v3, v82, v3
	s_delay_alu instid0(VALU_DEP_2) | instskip(NEXT) | instid1(VALU_DEP_2)
	v_sub_nc_u16 v4, v88, v4
	v_lshlrev_b16 v5, 3, v3
	v_mad_u16 v0, v0, 27, v3
	s_delay_alu instid0(VALU_DEP_3) | instskip(NEXT) | instid1(VALU_DEP_3)
	v_lshlrev_b16 v6, 3, v4
	v_and_b32_e32 v5, 0xffff, v5
	s_delay_alu instid0(VALU_DEP_3) | instskip(SKIP_1) | instid1(VALU_DEP_4)
	v_and_b32_e32 v0, 0xffff, v0
	v_mad_u16 v2, v2, 27, v4
	v_and_b32_e32 v6, 0xffff, v6
	s_delay_alu instid0(VALU_DEP_4) | instskip(SKIP_2) | instid1(VALU_DEP_3)
	v_add_co_u32 v22, s2, s6, v5
	s_wait_alu 0xf1ff
	v_add_co_ci_u32_e64 v23, null, s7, 0, s2
	v_add_co_u32 v26, s2, s6, v6
	v_lshlrev_b32_e32 v5, 3, v29
	s_wait_alu 0xf1ff
	v_add_co_ci_u32_e64 v27, null, s7, 0, s2
	s_clause 0x3
	global_load_b64 v[24:25], v[22:23], off offset:24
	global_load_b64 v[26:27], v[26:27], off offset:24
	;; [unrolled: 1-line block ×3, first 2 shown]
	global_load_b64 v[133:134], v5, s[6:7] offset:24
	ds_load_2addr_b32 v[30:31], v185 offset0:6 offset1:249
	ds_load_2addr_b32 v[40:41], v176 offset0:6 offset1:249
	;; [unrolled: 1-line block ×3, first 2 shown]
	v_lshlrev_b32_e32 v0, 2, v0
	v_and_b32_e32 v2, 0xffff, v2
	s_delay_alu instid0(VALU_DEP_1)
	v_lshlrev_b32_e32 v2, 2, v2
	s_wait_dscnt 0x2
	v_lshrrev_b32_e32 v5, 16, v30
	v_lshrrev_b32_e32 v7, 16, v31
	s_wait_loadcnt 0x1
	v_lshrrev_b32_e32 v10, 16, v122
	s_wait_loadcnt 0x0
	v_lshrrev_b32_e32 v12, 16, v134
	v_lshrrev_b32_e32 v13, 16, v121
	;; [unrolled: 1-line block ×3, first 2 shown]
	v_mul_f16_e32 v8, v7, v10
	s_delay_alu instid0(VALU_DEP_4)
	v_mul_f16_e32 v6, v5, v12
	v_mul_f16_e32 v10, v31, v10
	;; [unrolled: 1-line block ×3, first 2 shown]
	s_wait_dscnt 0x1
	v_mul_f16_e32 v12, v40, v13
	v_fma_f16 v8, v31, v122, -v8
	v_fma_f16 v6, v30, v134, -v6
	v_fmac_f16_e32 v10, v7, v122
	v_lshrrev_b32_e32 v7, 16, v40
	ds_load_2addr_b32 v[30:31], v120 offset1:243
	v_fmac_f16_e64 v11, v5, v134
	v_fmac_f16_e32 v12, v7, v121
	v_mul_f16_e32 v7, v7, v13
	s_delay_alu instid0(VALU_DEP_1) | instskip(NEXT) | instid1(VALU_DEP_1)
	v_fma_f16 v7, v40, v121, -v7
	v_add_f16_e32 v13, v7, v8
	s_wait_dscnt 0x0
	v_lshrrev_b32_e32 v14, 16, v31
	v_add_f16_e32 v15, v31, v7
	s_delay_alu instid0(VALU_DEP_3)
	v_fmac_f16_e32 v31, -0.5, v13
	v_add_f16_e32 v13, v12, v10
	v_sub_f16_e32 v7, v7, v8
	v_add_f16_e32 v16, v14, v12
	v_sub_f16_e32 v12, v12, v10
	v_lshrrev_b32_e32 v19, 16, v30
	v_fmac_f16_e32 v14, -0.5, v13
	s_delay_alu instid0(VALU_DEP_3) | instskip(SKIP_1) | instid1(VALU_DEP_3)
	v_fmamk_f16 v13, v12, 0x3aee, v31
	v_fmac_f16_e32 v31, 0xbaee, v12
	v_fmamk_f16 v12, v7, 0xbaee, v14
	v_fmac_f16_e32 v14, 0x3aee, v7
	v_lshrrev_b32_e32 v7, 16, v43
	s_delay_alu instid0(VALU_DEP_2) | instskip(NEXT) | instid1(VALU_DEP_2)
	v_pack_b32_f16 v14, v31, v14
	v_mul_f16_e32 v17, v7, v21
	v_mul_f16_e32 v21, v43, v21
	s_delay_alu instid0(VALU_DEP_2) | instskip(NEXT) | instid1(VALU_DEP_2)
	v_fma_f16 v17, v43, v133, -v17
	v_fmac_f16_e64 v21, v7, v133
	s_delay_alu instid0(VALU_DEP_2) | instskip(NEXT) | instid1(VALU_DEP_2)
	v_add_f16_e32 v20, v30, v17
	v_add_f16_e32 v7, v19, v21
	v_add_f16_e32 v18, v17, v6
	v_sub_f16_e32 v5, v17, v6
	v_add_f16_e32 v17, v21, v11
	v_add_f16_e32 v6, v20, v6
	v_sub_f16_e32 v20, v21, v11
	v_add_f16_e32 v7, v7, v11
	v_and_b32_e32 v11, 0xffff, v28
	v_fma_f16 v18, -0.5, v18, v30
	v_fmac_f16_e32 v19, -0.5, v17
	v_mul_u32_u24_e32 v30, 0xe38f, v95
	v_pack_b32_f16 v6, v6, v7
	v_mul_u32_u24_e32 v11, 27, v11
	v_fmamk_f16 v7, v20, 0x3aee, v18
	v_fmac_f16_e32 v18, 0xbaee, v20
	v_lshrrev_b32_e32 v40, 19, v30
	v_mul_u32_u24_e32 v30, 0xe38f, v94
	v_add_lshl_u32 v22, v11, v29, 2
	v_fmamk_f16 v11, v5, 0xbaee, v19
	v_fmac_f16_e32 v19, 0x3aee, v5
	v_add_f16_e32 v5, v15, v8
	v_lshrrev_b32_e32 v55, 19, v30
	v_mul_u32_u24_e32 v30, 0xe38f, v89
	v_pack_b32_f16 v7, v7, v11
	v_mul_u32_u24_e32 v11, 0xe38f, v77
	v_mad_u16 v8, v38, 27, v39
	v_mul_lo_u16 v31, v55, 9
	v_lshrrev_b32_e32 v64, 19, v30
	s_delay_alu instid0(VALU_DEP_4) | instskip(NEXT) | instid1(VALU_DEP_3)
	v_lshrrev_b32_e32 v11, 19, v11
	v_sub_nc_u16 v67, v110, v31
	s_delay_alu instid0(VALU_DEP_3) | instskip(NEXT) | instid1(VALU_DEP_3)
	v_mul_lo_u16 v32, v64, 9
	v_mul_lo_u16 v17, v11, 9
	s_delay_alu instid0(VALU_DEP_3) | instskip(NEXT) | instid1(VALU_DEP_3)
	v_lshlrev_b16 v33, 3, v67
	v_sub_nc_u16 v68, v9, v32
	s_delay_alu instid0(VALU_DEP_3) | instskip(NEXT) | instid1(VALU_DEP_3)
	v_sub_nc_u16 v17, v113, v17
	v_and_b32_e32 v34, 0xffff, v33
	s_delay_alu instid0(VALU_DEP_3) | instskip(NEXT) | instid1(VALU_DEP_3)
	v_lshlrev_b16 v33, 3, v68
	v_lshlrev_b16 v21, 3, v17
	s_delay_alu instid0(VALU_DEP_2) | instskip(NEXT) | instid1(VALU_DEP_2)
	v_and_b32_e32 v36, 0xffff, v33
	v_and_b32_e32 v21, 0xffff, v21
	s_delay_alu instid0(VALU_DEP_1)
	v_add_co_u32 v28, s2, s6, v21
	s_wait_alu 0xf1ff
	v_add_co_ci_u32_e64 v29, null, s7, 0, s2
	v_mul_u32_u24_e32 v21, 0xe38f, v76
	global_load_b64 v[28:29], v[28:29], off offset:24
	v_lshrrev_b32_e32 v21, 19, v21
	s_delay_alu instid0(VALU_DEP_1) | instskip(NEXT) | instid1(VALU_DEP_1)
	v_mul_lo_u16 v30, v21, 9
	v_sub_nc_u16 v65, v111, v30
	v_mul_lo_u16 v30, v40, 9
	s_delay_alu instid0(VALU_DEP_1) | instskip(NEXT) | instid1(VALU_DEP_3)
	v_sub_nc_u16 v66, v112, v30
	v_lshlrev_b16 v30, 3, v65
	s_delay_alu instid0(VALU_DEP_2) | instskip(NEXT) | instid1(VALU_DEP_2)
	v_lshlrev_b16 v32, 3, v66
	v_and_b32_e32 v30, 0xffff, v30
	s_delay_alu instid0(VALU_DEP_2) | instskip(NEXT) | instid1(VALU_DEP_2)
	v_and_b32_e32 v32, 0xffff, v32
	v_add_co_u32 v30, s2, s6, v30
	s_wait_alu 0xf1ff
	v_add_co_ci_u32_e64 v31, null, s7, 0, s2
	s_delay_alu instid0(VALU_DEP_3)
	v_add_co_u32 v32, s2, s6, v32
	s_wait_alu 0xf1ff
	v_add_co_ci_u32_e64 v33, null, s7, 0, s2
	global_load_b64 v[30:31], v[30:31], off offset:24
	v_add_co_u32 v34, s2, s6, v34
	s_wait_alu 0xf1ff
	v_add_co_ci_u32_e64 v35, null, s7, 0, s2
	v_add_co_u32 v36, s2, s6, v36
	s_wait_alu 0xf1ff
	v_add_co_ci_u32_e64 v37, null, s7, 0, s2
	s_clause 0x2
	global_load_b64 v[32:33], v[32:33], off offset:24
	global_load_b64 v[34:35], v[34:35], off offset:24
	;; [unrolled: 1-line block ×3, first 2 shown]
	ds_load_b32 v69, v120 offset:25272
	ds_load_2addr_b32 v[43:44], v171 offset0:6 offset1:249
	ds_load_2addr_b32 v[45:46], v179 offset0:12 offset1:255
	;; [unrolled: 1-line block ×8, first 2 shown]
	ds_load_2addr_b32 v[62:63], v139 offset1:243
	global_wb scope:SCOPE_SE
	s_wait_loadcnt_dscnt 0x0
	s_barrier_signal -1
	s_barrier_wait -1
	global_inv scope:SCOPE_SE
	ds_store_2addr_b32 v22, v6, v7 offset1:9
	v_pack_b32_f16 v7, v18, v19
	v_add_f16_e32 v6, v16, v10
	scratch_store_b32 off, v22, off offset:280 ; 4-byte Folded Spill
	ds_store_b32 v22, v7 offset:72
	v_and_b32_e32 v7, 0xffff, v8
	v_pack_b32_f16 v5, v5, v6
	v_pack_b32_f16 v6, v13, v12
	v_lshrrev_b32_e32 v13, 16, v25
	v_lshrrev_b32_e32 v3, 16, v45
	v_lshlrev_b32_e32 v7, 2, v7
	v_lshrrev_b32_e32 v8, 16, v43
	ds_store_2addr_b32 v7, v5, v6 offset1:9
	v_mov_b32_e32 v15, v7
	v_lshrrev_b32_e32 v5, 16, v41
	v_lshrrev_b32_e32 v7, 16, v24
	scratch_store_b32 off, v15, off offset:284 ; 4-byte Folded Spill
	ds_store_b32 v15, v14 offset:72
	v_mul_f16_e32 v6, v5, v7
	v_mul_f16_e32 v7, v41, v7
	v_mov_b32_e32 v15, v0
	s_delay_alu instid0(VALU_DEP_3) | instskip(NEXT) | instid1(VALU_DEP_3)
	v_fma_f16 v6, v41, v24, -v6
	v_fmac_f16_e32 v7, v5, v24
	v_mul_f16_e32 v5, v45, v13
	s_delay_alu instid0(VALU_DEP_2) | instskip(NEXT) | instid1(VALU_DEP_2)
	v_add_f16_e32 v10, v8, v7
	v_fmac_f16_e32 v5, v3, v25
	v_mul_f16_e32 v3, v3, v13
	s_delay_alu instid0(VALU_DEP_2) | instskip(NEXT) | instid1(VALU_DEP_2)
	v_sub_f16_e32 v12, v7, v5
	v_fma_f16 v3, v45, v25, -v3
	v_add_f16_e32 v7, v7, v5
	v_add_f16_e32 v5, v10, v5
	;; [unrolled: 1-line block ×3, first 2 shown]
	s_delay_alu instid0(VALU_DEP_4) | instskip(NEXT) | instid1(VALU_DEP_4)
	v_add_f16_e32 v13, v6, v3
	v_fmac_f16_e32 v8, -0.5, v7
	s_delay_alu instid0(VALU_DEP_3) | instskip(SKIP_1) | instid1(VALU_DEP_4)
	v_add_f16_e32 v10, v10, v3
	v_sub_f16_e32 v3, v6, v3
	v_fma_f16 v6, -0.5, v13, v43
	s_delay_alu instid0(VALU_DEP_3) | instskip(NEXT) | instid1(VALU_DEP_3)
	v_pack_b32_f16 v5, v10, v5
	v_fmamk_f16 v10, v3, 0xbaee, v8
	s_delay_alu instid0(VALU_DEP_3) | instskip(SKIP_3) | instid1(VALU_DEP_4)
	v_fmamk_f16 v7, v12, 0x3aee, v6
	v_fmac_f16_e32 v8, 0x3aee, v3
	v_fmac_f16_e32 v6, 0xbaee, v12
	v_lshrrev_b32_e32 v12, 16, v44
	v_pack_b32_f16 v7, v7, v10
	v_lshrrev_b32_e32 v10, 16, v26
	s_delay_alu instid0(VALU_DEP_4)
	v_pack_b32_f16 v6, v6, v8
	ds_store_2addr_b32 v0, v5, v7 offset1:9
	v_lshrrev_b32_e32 v0, 16, v46
	v_lshrrev_b32_e32 v7, 16, v27
	v_mul_f16_e32 v3, v47, v10
	ds_store_b32 v15, v6 offset:72
	v_mul_f16_e32 v5, v0, v7
	v_mul_f16_e32 v7, v46, v7
	s_delay_alu instid0(VALU_DEP_2) | instskip(NEXT) | instid1(VALU_DEP_2)
	v_fma_f16 v5, v46, v27, -v5
	v_fmac_f16_e32 v7, v0, v27
	v_lshrrev_b32_e32 v0, 16, v47
	s_delay_alu instid0(VALU_DEP_1) | instskip(SKIP_1) | instid1(VALU_DEP_2)
	v_fmac_f16_e32 v3, v0, v26
	v_mul_f16_e32 v0, v0, v10
	v_add_f16_e32 v14, v3, v7
	s_delay_alu instid0(VALU_DEP_2) | instskip(NEXT) | instid1(VALU_DEP_1)
	v_fma_f16 v0, v47, v26, -v0
	v_add_f16_e32 v10, v0, v5
	v_add_f16_e32 v13, v44, v0
	v_sub_f16_e32 v0, v0, v5
	s_delay_alu instid0(VALU_DEP_3) | instskip(SKIP_4) | instid1(VALU_DEP_4)
	v_fmac_f16_e32 v44, -0.5, v10
	v_add_f16_e32 v10, v12, v3
	v_sub_f16_e32 v3, v3, v7
	v_fmac_f16_e32 v12, -0.5, v14
	v_add_f16_e32 v8, v13, v5
	v_add_f16_e32 v7, v10, v7
	s_delay_alu instid0(VALU_DEP_4) | instskip(NEXT) | instid1(VALU_DEP_4)
	v_fmamk_f16 v5, v3, 0x3aee, v44
	v_fmamk_f16 v6, v0, 0xbaee, v12
	v_mov_b32_e32 v10, v2
	scratch_store_b32 off, v15, off offset:288 ; 4-byte Folded Spill
	v_pack_b32_f16 v4, v8, v7
	v_fmac_f16_e32 v44, 0xbaee, v3
	v_pack_b32_f16 v5, v5, v6
	v_fmac_f16_e32 v12, 0x3aee, v0
	v_lshrrev_b32_e32 v6, 16, v49
	ds_store_2addr_b32 v2, v4, v5 offset1:9
	v_lshrrev_b32_e32 v2, 16, v48
	v_pack_b32_f16 v0, v44, v12
	ds_store_b32 v10, v0 offset:72
	v_mad_u16 v0, v11, 27, v17
	s_delay_alu instid0(VALU_DEP_1) | instskip(NEXT) | instid1(VALU_DEP_1)
	v_and_b32_e32 v0, 0xffff, v0
	v_lshlrev_b32_e32 v0, 2, v0
	v_lshrrev_b32_e32 v4, 16, v28
	v_lshrrev_b32_e32 v12, 16, v29
	s_delay_alu instid0(VALU_DEP_2) | instskip(SKIP_1) | instid1(VALU_DEP_3)
	v_mul_f16_e32 v3, v2, v4
	v_mul_f16_e32 v4, v48, v4
	;; [unrolled: 1-line block ×3, first 2 shown]
	s_delay_alu instid0(VALU_DEP_3) | instskip(NEXT) | instid1(VALU_DEP_3)
	v_fma_f16 v3, v48, v28, -v3
	v_fmac_f16_e32 v4, v2, v28
	v_lshrrev_b32_e32 v2, 16, v51
	s_delay_alu instid0(VALU_DEP_2) | instskip(NEXT) | instid1(VALU_DEP_2)
	v_add_f16_e32 v7, v6, v4
	v_fmac_f16_e32 v5, v2, v29
	v_mul_f16_e32 v2, v2, v12
	v_mov_b32_e32 v12, v0
	scratch_store_b32 off, v10, off offset:292 ; 4-byte Folded Spill
	v_add_f16_e32 v8, v4, v5
	v_sub_f16_e32 v4, v4, v5
	v_add_f16_e32 v5, v7, v5
	v_fma_f16 v2, v51, v29, -v2
	v_add_f16_e32 v7, v49, v3
	v_fmac_f16_e32 v6, -0.5, v8
	s_delay_alu instid0(VALU_DEP_3) | instskip(NEXT) | instid1(VALU_DEP_3)
	v_add_f16_e32 v8, v3, v2
	v_add_f16_e32 v7, v7, v2
	v_sub_f16_e32 v2, v3, v2
	s_delay_alu instid0(VALU_DEP_2) | instskip(NEXT) | instid1(VALU_DEP_4)
	v_pack_b32_f16 v3, v7, v5
	v_fma_f16 v5, -0.5, v8, v49
	s_delay_alu instid0(VALU_DEP_3) | instskip(SKIP_1) | instid1(VALU_DEP_3)
	v_fmamk_f16 v8, v2, 0xbaee, v6
	v_fmac_f16_e32 v6, 0x3aee, v2
	v_fmamk_f16 v7, v4, 0x3aee, v5
	v_fmac_f16_e32 v5, 0xbaee, v4
	v_lshrrev_b32_e32 v4, 16, v30
	s_delay_alu instid0(VALU_DEP_3) | instskip(SKIP_1) | instid1(VALU_DEP_3)
	v_pack_b32_f16 v7, v7, v8
	v_lshrrev_b32_e32 v8, 16, v50
	v_mul_f16_e32 v2, v53, v4
	v_pack_b32_f16 v5, v5, v6
	v_lshrrev_b32_e32 v175, 16, v36
	ds_store_2addr_b32 v0, v3, v7 offset1:9
	v_lshrrev_b32_e32 v0, 16, v52
	v_lshrrev_b32_e32 v7, 16, v31
	ds_store_b32 v12, v5 offset:72
	v_lshrrev_b32_e32 v184, 16, v37
	v_mul_f16_e32 v3, v0, v7
	v_mul_f16_e32 v7, v52, v7
	s_delay_alu instid0(VALU_DEP_2) | instskip(NEXT) | instid1(VALU_DEP_2)
	v_fma_f16 v3, v52, v31, -v3
	v_fmac_f16_e32 v7, v0, v31
	v_lshrrev_b32_e32 v0, 16, v53
	s_delay_alu instid0(VALU_DEP_1) | instskip(SKIP_1) | instid1(VALU_DEP_2)
	v_fmac_f16_e32 v2, v0, v30
	v_mul_f16_e32 v0, v0, v4
	v_add_f16_e32 v11, v2, v7
	s_delay_alu instid0(VALU_DEP_2) | instskip(NEXT) | instid1(VALU_DEP_1)
	v_fma_f16 v0, v53, v30, -v0
	v_add_f16_e32 v4, v0, v3
	v_add_f16_e32 v10, v50, v0
	v_sub_f16_e32 v0, v0, v3
	s_delay_alu instid0(VALU_DEP_3)
	v_fmac_f16_e32 v50, -0.5, v4
	v_add_f16_e32 v4, v8, v2
	v_sub_f16_e32 v2, v2, v7
	v_fmac_f16_e32 v8, -0.5, v11
	v_add_f16_e32 v6, v10, v3
	v_mad_u16 v3, v21, 27, v65
	v_add_f16_e32 v4, v4, v7
	v_fmamk_f16 v5, v2, 0x3aee, v50
	v_fmac_f16_e32 v50, 0xbaee, v2
	v_lshrrev_b32_e32 v2, 16, v54
	v_and_b32_e32 v3, 0xffff, v3
	v_pack_b32_f16 v4, v6, v4
	v_fmamk_f16 v6, v0, 0xbaee, v8
	v_lshrrev_b32_e32 v11, 16, v33
	v_fmac_f16_e32 v8, 0x3aee, v0
	v_lshlrev_b32_e32 v3, 2, v3
	s_delay_alu instid0(VALU_DEP_4) | instskip(SKIP_1) | instid1(VALU_DEP_4)
	v_pack_b32_f16 v5, v5, v6
	v_lshrrev_b32_e32 v6, 16, v58
	v_pack_b32_f16 v0, v50, v8
	s_delay_alu instid0(VALU_DEP_4)
	v_mov_b32_e32 v10, v3
	scratch_store_b32 off, v12, off offset:296 ; 4-byte Folded Spill
	ds_store_2addr_b32 v3, v4, v5 offset1:9
	v_lshrrev_b32_e32 v4, 16, v32
	v_mul_f16_e32 v5, v60, v11
	ds_store_b32 v10, v0 offset:72
	v_mad_u16 v0, v40, 27, v66
	v_mul_f16_e32 v3, v2, v4
	v_mul_f16_e32 v4, v54, v4
	s_delay_alu instid0(VALU_DEP_3) | instskip(NEXT) | instid1(VALU_DEP_3)
	v_and_b32_e32 v0, 0xffff, v0
	v_fma_f16 v3, v54, v32, -v3
	s_delay_alu instid0(VALU_DEP_3) | instskip(SKIP_1) | instid1(VALU_DEP_4)
	v_fmac_f16_e32 v4, v2, v32
	v_lshrrev_b32_e32 v2, 16, v60
	v_lshlrev_b32_e32 v0, 2, v0
	s_delay_alu instid0(VALU_DEP_3) | instskip(NEXT) | instid1(VALU_DEP_3)
	v_add_f16_e32 v7, v6, v4
	v_fmac_f16_e32 v5, v2, v33
	v_mul_f16_e32 v2, v2, v11
	s_delay_alu instid0(VALU_DEP_4)
	v_mov_b32_e32 v12, v0
	scratch_store_b32 off, v10, off offset:300 ; 4-byte Folded Spill
	v_add_f16_e32 v8, v4, v5
	v_sub_f16_e32 v4, v4, v5
	v_add_f16_e32 v5, v7, v5
	v_fma_f16 v2, v60, v33, -v2
	v_add_f16_e32 v7, v58, v3
	v_fmac_f16_e32 v6, -0.5, v8
	s_delay_alu instid0(VALU_DEP_3) | instskip(NEXT) | instid1(VALU_DEP_3)
	v_add_f16_e32 v8, v3, v2
	v_add_f16_e32 v7, v7, v2
	v_sub_f16_e32 v2, v3, v2
	s_delay_alu instid0(VALU_DEP_2) | instskip(NEXT) | instid1(VALU_DEP_4)
	v_pack_b32_f16 v3, v7, v5
	v_fma_f16 v5, -0.5, v8, v58
	s_delay_alu instid0(VALU_DEP_3) | instskip(SKIP_1) | instid1(VALU_DEP_3)
	v_fmamk_f16 v8, v2, 0xbaee, v6
	v_fmac_f16_e32 v6, 0x3aee, v2
	v_fmamk_f16 v7, v4, 0x3aee, v5
	v_fmac_f16_e32 v5, 0xbaee, v4
	v_lshrrev_b32_e32 v4, 16, v34
	s_delay_alu instid0(VALU_DEP_3) | instskip(SKIP_1) | instid1(VALU_DEP_3)
	v_pack_b32_f16 v7, v7, v8
	v_lshrrev_b32_e32 v8, 16, v59
	v_mul_f16_e32 v2, v62, v4
	v_pack_b32_f16 v5, v5, v6
	ds_store_2addr_b32 v0, v3, v7 offset1:9
	v_lshrrev_b32_e32 v0, 16, v61
	v_lshrrev_b32_e32 v7, 16, v35
	ds_store_b32 v12, v5 offset:72
	v_mul_f16_e32 v3, v0, v7
	v_mul_f16_e32 v7, v61, v7
	s_delay_alu instid0(VALU_DEP_2) | instskip(NEXT) | instid1(VALU_DEP_2)
	v_fma_f16 v3, v61, v35, -v3
	v_fmac_f16_e32 v7, v0, v35
	v_lshrrev_b32_e32 v0, 16, v62
	s_delay_alu instid0(VALU_DEP_1) | instskip(SKIP_1) | instid1(VALU_DEP_2)
	v_fmac_f16_e32 v2, v0, v34
	v_mul_f16_e32 v0, v0, v4
	v_add_f16_e32 v11, v2, v7
	s_delay_alu instid0(VALU_DEP_2) | instskip(NEXT) | instid1(VALU_DEP_1)
	v_fma_f16 v0, v62, v34, -v0
	v_add_f16_e32 v4, v0, v3
	v_add_f16_e32 v10, v59, v0
	v_sub_f16_e32 v0, v0, v3
	s_delay_alu instid0(VALU_DEP_3)
	v_fmac_f16_e32 v59, -0.5, v4
	v_add_f16_e32 v4, v8, v2
	v_sub_f16_e32 v2, v2, v7
	v_fmac_f16_e32 v8, -0.5, v11
	v_add_f16_e32 v6, v10, v3
	v_mad_u16 v3, v55, 27, v67
	v_add_f16_e32 v4, v4, v7
	v_fmamk_f16 v5, v2, 0x3aee, v59
	v_fmac_f16_e32 v59, 0xbaee, v2
	v_lshrrev_b32_e32 v2, 16, v63
	v_and_b32_e32 v3, 0xffff, v3
	v_pack_b32_f16 v4, v6, v4
	v_fmamk_f16 v6, v0, 0xbaee, v8
	v_fmac_f16_e32 v8, 0x3aee, v0
	v_lshrrev_b32_e32 v7, 16, v42
	v_lshlrev_b32_e32 v3, 2, v3
	s_delay_alu instid0(VALU_DEP_4) | instskip(SKIP_2) | instid1(VALU_DEP_4)
	v_pack_b32_f16 v5, v5, v6
	v_mul_f16_e64 v6, v69, v184
	v_pack_b32_f16 v0, v59, v8
	v_mov_b32_e32 v11, v3
	ds_store_2addr_b32 v3, v4, v5 offset1:9
	v_mul_f16_e64 v4, v63, v175
	v_mul_f16_e64 v3, v2, v175
	ds_store_b32 v11, v0 offset:72
	v_fmac_f16_e32 v4, v2, v36
	v_lshrrev_b32_e32 v2, 16, v69
	v_fma_f16 v3, v63, v36, -v3
	s_delay_alu instid0(VALU_DEP_2) | instskip(SKIP_1) | instid1(VALU_DEP_3)
	v_mul_f16_e64 v5, v2, v184
	v_fmac_f16_e32 v6, v2, v37
	v_add_f16_e32 v8, v42, v3
	s_delay_alu instid0(VALU_DEP_3) | instskip(NEXT) | instid1(VALU_DEP_1)
	v_fma_f16 v5, v69, v37, -v5
	v_add_f16_e32 v2, v3, v5
	s_delay_alu instid0(VALU_DEP_1) | instskip(SKIP_1) | instid1(VALU_DEP_1)
	v_fmac_f16_e32 v42, -0.5, v2
	v_sub_f16_e32 v2, v4, v6
	v_fmamk_f16 v10, v2, 0x3aee, v42
	v_fmac_f16_e32 v42, 0xbaee, v2
	v_add_f16_e32 v2, v4, v6
	v_add_f16_e32 v4, v7, v4
	s_delay_alu instid0(VALU_DEP_2) | instskip(SKIP_2) | instid1(VALU_DEP_4)
	v_fmac_f16_e32 v7, -0.5, v2
	v_sub_f16_e32 v2, v3, v5
	v_add_f16_e32 v5, v8, v5
	v_add_f16_e32 v4, v4, v6
	v_mad_u16 v6, v64, 27, v68
	s_delay_alu instid0(VALU_DEP_4) | instskip(SKIP_1) | instid1(VALU_DEP_4)
	v_fmamk_f16 v3, v2, 0xbaee, v7
	v_fmac_f16_e32 v7, 0x3aee, v2
	v_pack_b32_f16 v0, v5, v4
	s_delay_alu instid0(VALU_DEP_4) | instskip(NEXT) | instid1(VALU_DEP_4)
	v_and_b32_e32 v4, 0xffff, v6
	v_pack_b32_f16 v3, v10, v3
	s_delay_alu instid0(VALU_DEP_4) | instskip(NEXT) | instid1(VALU_DEP_3)
	v_pack_b32_f16 v2, v42, v7
	v_lshlrev_b32_e32 v4, 2, v4
	s_clause 0x2
	scratch_store_b32 off, v12, off offset:304
	scratch_store_b32 off, v11, off offset:312
	;; [unrolled: 1-line block ×3, first 2 shown]
	ds_store_2addr_b32 v4, v0, v3 offset1:9
	ds_store_b32 v4, v2 offset:72
	v_mul_u32_u24_e32 v0, 0x2f69, v56
	global_wb scope:SCOPE_SE
	s_wait_storecnt_dscnt 0x0
	s_barrier_signal -1
	s_barrier_wait -1
	global_inv scope:SCOPE_SE
	v_lshrrev_b32_e32 v0, 16, v0
	s_delay_alu instid0(VALU_DEP_1) | instskip(NEXT) | instid1(VALU_DEP_1)
	v_sub_nc_u16 v2, v83, v0
	v_lshrrev_b16 v2, 1, v2
	s_delay_alu instid0(VALU_DEP_1) | instskip(SKIP_1) | instid1(VALU_DEP_2)
	v_add_nc_u16 v0, v2, v0
	v_mul_u32_u24_e32 v2, 0x2f69, v75
	v_lshrrev_b16 v0, 4, v0
	s_delay_alu instid0(VALU_DEP_2) | instskip(NEXT) | instid1(VALU_DEP_2)
	v_lshrrev_b32_e32 v2, 16, v2
	v_mul_lo_u16 v12, v0, 27
	s_delay_alu instid0(VALU_DEP_2) | instskip(NEXT) | instid1(VALU_DEP_2)
	v_sub_nc_u16 v3, v82, v2
	v_sub_nc_u16 v12, v83, v12
	s_delay_alu instid0(VALU_DEP_2) | instskip(NEXT) | instid1(VALU_DEP_2)
	v_lshrrev_b16 v3, 1, v3
	v_mad_u16 v0, 0x51, v0, v12
	s_delay_alu instid0(VALU_DEP_2) | instskip(SKIP_1) | instid1(VALU_DEP_3)
	v_add_nc_u16 v2, v3, v2
	v_mul_u32_u24_e32 v3, 0x2f69, v74
	v_and_b32_e32 v0, 0xffff, v0
	s_delay_alu instid0(VALU_DEP_3) | instskip(NEXT) | instid1(VALU_DEP_3)
	v_lshrrev_b16 v2, 4, v2
	v_lshrrev_b32_e32 v3, 16, v3
	s_delay_alu instid0(VALU_DEP_3) | instskip(NEXT) | instid1(VALU_DEP_2)
	v_lshlrev_b32_e32 v0, 2, v0
	v_sub_nc_u16 v4, v88, v3
	s_delay_alu instid0(VALU_DEP_1) | instskip(NEXT) | instid1(VALU_DEP_1)
	v_lshrrev_b16 v4, 1, v4
	v_add_nc_u16 v3, v4, v3
	v_mul_u32_u24_e32 v4, 0x2f69, v77
	s_delay_alu instid0(VALU_DEP_2) | instskip(NEXT) | instid1(VALU_DEP_2)
	v_lshrrev_b16 v3, 4, v3
	v_lshrrev_b32_e32 v4, 16, v4
	s_delay_alu instid0(VALU_DEP_2) | instskip(NEXT) | instid1(VALU_DEP_2)
	v_mul_lo_u16 v13, v3, 27
	v_sub_nc_u16 v5, v113, v4
	s_delay_alu instid0(VALU_DEP_2) | instskip(NEXT) | instid1(VALU_DEP_2)
	v_sub_nc_u16 v13, v88, v13
	v_lshrrev_b16 v5, 1, v5
	s_delay_alu instid0(VALU_DEP_2) | instskip(NEXT) | instid1(VALU_DEP_2)
	v_lshlrev_b16 v15, 3, v13
	v_add_nc_u16 v4, v5, v4
	v_mul_u32_u24_e32 v5, 0x2f69, v76
	s_delay_alu instid0(VALU_DEP_3) | instskip(NEXT) | instid1(VALU_DEP_3)
	v_and_b32_e32 v15, 0xffff, v15
	v_lshrrev_b16 v4, 4, v4
	s_delay_alu instid0(VALU_DEP_3) | instskip(NEXT) | instid1(VALU_DEP_1)
	v_lshrrev_b32_e32 v5, 16, v5
	v_sub_nc_u16 v6, v111, v5
	s_delay_alu instid0(VALU_DEP_1) | instskip(NEXT) | instid1(VALU_DEP_1)
	v_lshrrev_b16 v6, 1, v6
	v_add_nc_u16 v5, v6, v5
	v_mul_u32_u24_e32 v6, 0x2f69, v95
	s_delay_alu instid0(VALU_DEP_2) | instskip(NEXT) | instid1(VALU_DEP_2)
	v_lshrrev_b16 v5, 4, v5
	v_lshrrev_b32_e32 v6, 16, v6
	s_delay_alu instid0(VALU_DEP_1) | instskip(NEXT) | instid1(VALU_DEP_1)
	v_sub_nc_u16 v7, v112, v6
	v_lshrrev_b16 v7, 1, v7
	s_delay_alu instid0(VALU_DEP_1) | instskip(SKIP_1) | instid1(VALU_DEP_2)
	v_add_nc_u16 v6, v7, v6
	v_mul_u32_u24_e32 v7, 0x2f69, v94
	v_lshrrev_b16 v6, 4, v6
	s_delay_alu instid0(VALU_DEP_2) | instskip(NEXT) | instid1(VALU_DEP_2)
	v_lshrrev_b32_e32 v7, 16, v7
	v_mul_lo_u16 v46, v6, 27
	s_delay_alu instid0(VALU_DEP_2) | instskip(NEXT) | instid1(VALU_DEP_1)
	v_sub_nc_u16 v8, v110, v7
	v_lshrrev_b16 v8, 1, v8
	s_delay_alu instid0(VALU_DEP_1) | instskip(SKIP_1) | instid1(VALU_DEP_2)
	v_add_nc_u16 v7, v8, v7
	v_mul_u32_u24_e32 v8, 0x2f69, v89
	v_lshrrev_b16 v7, 4, v7
	s_delay_alu instid0(VALU_DEP_2) | instskip(NEXT) | instid1(VALU_DEP_1)
	v_lshrrev_b32_e32 v8, 16, v8
	v_sub_nc_u16 v10, v9, v8
	s_delay_alu instid0(VALU_DEP_1) | instskip(NEXT) | instid1(VALU_DEP_1)
	v_lshrrev_b16 v10, 1, v10
	v_add_nc_u16 v8, v10, v8
	v_mul_lo_u16 v10, v57, 19
	s_delay_alu instid0(VALU_DEP_2) | instskip(NEXT) | instid1(VALU_DEP_2)
	v_lshrrev_b16 v8, 4, v8
	v_lshrrev_b16 v10, 9, v10
	s_delay_alu instid0(VALU_DEP_2) | instskip(NEXT) | instid1(VALU_DEP_2)
	v_mul_lo_u16 v52, v8, 27
	v_mul_lo_u16 v11, v10, 27
	v_and_b32_e32 v10, 0xffff, v10
	s_delay_alu instid0(VALU_DEP_3) | instskip(NEXT) | instid1(VALU_DEP_3)
	v_sub_nc_u16 v90, v9, v52
	v_sub_nc_u16 v11, v1, v11
	s_delay_alu instid0(VALU_DEP_3) | instskip(NEXT) | instid1(VALU_DEP_3)
	v_mul_u32_u24_e32 v10, 0x51, v10
	v_lshlrev_b16 v53, 3, v90
	s_delay_alu instid0(VALU_DEP_3) | instskip(NEXT) | instid1(VALU_DEP_2)
	v_and_b32_e32 v11, 0xff, v11
	v_and_b32_e32 v54, 0xffff, v53
	s_delay_alu instid0(VALU_DEP_2) | instskip(SKIP_2) | instid1(VALU_DEP_1)
	v_add_lshl_u32 v22, v10, v11, 2
	v_lshlrev_b32_e32 v10, 3, v11
	v_lshlrev_b16 v11, 3, v12
	v_and_b32_e32 v11, 0xffff, v11
	s_delay_alu instid0(VALU_DEP_1) | instskip(SKIP_3) | instid1(VALU_DEP_2)
	v_add_co_u32 v38, s2, s6, v11
	v_mul_lo_u16 v11, v2, 27
	s_wait_alu 0xf1ff
	v_add_co_ci_u32_e64 v39, null, s7, 0, s2
	v_sub_nc_u16 v11, v82, v11
	s_delay_alu instid0(VALU_DEP_1) | instskip(NEXT) | instid1(VALU_DEP_1)
	v_lshlrev_b16 v14, 3, v11
	v_and_b32_e32 v14, 0xffff, v14
	s_delay_alu instid0(VALU_DEP_1)
	v_add_co_u32 v42, s2, s6, v14
	s_wait_alu 0xf1ff
	v_add_co_ci_u32_e64 v43, null, s7, 0, s2
	v_add_co_u32 v44, s2, s6, v15
	s_wait_alu 0xf1ff
	v_add_co_ci_u32_e64 v45, null, s7, 0, s2
	s_clause 0x3
	global_load_b64 v[40:41], v[38:39], off offset:96
	global_load_b64 v[42:43], v[42:43], off offset:96
	;; [unrolled: 1-line block ×3, first 2 shown]
	global_load_b64 v[38:39], v10, s[6:7] offset:96
	ds_load_2addr_b32 v[58:59], v186 offset0:8 offset1:251
	ds_load_2addr_b32 v[60:61], v185 offset0:6 offset1:249
	ds_load_2addr_b32 v[62:63], v120 offset1:243
	s_wait_dscnt 0x2
	v_lshrrev_b32_e32 v10, 16, v59
	s_wait_dscnt 0x0
	v_lshrrev_b32_e32 v17, 16, v62
	s_wait_loadcnt 0x3
	v_lshrrev_b32_e32 v159, 16, v41
	v_lshrrev_b32_e32 v156, 16, v40
	s_wait_loadcnt 0x2
	v_lshrrev_b32_e32 v148, 16, v42
	s_wait_loadcnt 0x0
	v_lshrrev_b32_e32 v15, 16, v38
	v_lshrrev_b32_e32 v21, 16, v39
	;; [unrolled: 1-line block ×4, first 2 shown]
	s_delay_alu instid0(VALU_DEP_4) | instskip(SKIP_3) | instid1(VALU_DEP_4)
	v_mul_f16_e32 v14, v59, v15
	v_mov_b32_e32 v20, v15
	v_lshrrev_b32_e32 v15, 16, v60
	v_mul_f16_e32 v16, v60, v21
	v_fmac_f16_e32 v14, v10, v38
	s_delay_alu instid0(VALU_DEP_4) | instskip(NEXT) | instid1(VALU_DEP_3)
	v_mul_f16_e32 v10, v10, v20
	v_fmac_f16_e32 v16, v15, v39
	v_mul_f16_e32 v15, v15, v21
	s_delay_alu instid0(VALU_DEP_4) | instskip(NEXT) | instid1(VALU_DEP_4)
	v_add_f16_e32 v18, v17, v14
	v_fma_f16 v10, v59, v38, -v10
	s_delay_alu instid0(VALU_DEP_4) | instskip(NEXT) | instid1(VALU_DEP_4)
	v_sub_f16_e32 v19, v14, v16
	v_fma_f16 v15, v60, v39, -v15
	v_add_f16_e32 v14, v14, v16
	v_add_f16_e32 v16, v18, v16
	;; [unrolled: 1-line block ×3, first 2 shown]
	s_delay_alu instid0(VALU_DEP_4) | instskip(SKIP_2) | instid1(VALU_DEP_4)
	v_add_f16_e32 v20, v10, v15
	v_sub_f16_e32 v10, v10, v15
	v_fmac_f16_e32 v17, -0.5, v14
	v_add_f16_e32 v18, v18, v15
	s_delay_alu instid0(VALU_DEP_4) | instskip(SKIP_2) | instid1(VALU_DEP_4)
	v_fma_f16 v15, -0.5, v20, v62
	v_sub_nc_u16 v62, v112, v46
	v_mul_lo_u16 v20, v5, 27
	v_pack_b32_f16 v14, v18, v16
	v_fmamk_f16 v18, v10, 0xbaee, v17
	v_fmamk_f16 v16, v19, 0x3aee, v15
	v_lshlrev_b16 v48, 3, v62
	v_sub_nc_u16 v20, v111, v20
	v_fmac_f16_e32 v17, 0x3aee, v10
	v_fmac_f16_e32 v15, 0xbaee, v19
	v_pack_b32_f16 v16, v16, v18
	v_mul_lo_u16 v18, v4, 27
	v_and_b32_e32 v50, 0xffff, v48
	s_delay_alu instid0(VALU_DEP_4) | instskip(NEXT) | instid1(VALU_DEP_3)
	v_pack_b32_f16 v15, v15, v17
	v_sub_nc_u16 v18, v113, v18
	s_delay_alu instid0(VALU_DEP_1) | instskip(NEXT) | instid1(VALU_DEP_1)
	v_lshlrev_b16 v21, 3, v18
	v_and_b32_e32 v21, 0xffff, v21
	s_delay_alu instid0(VALU_DEP_1)
	v_add_co_u32 v46, s2, s6, v21
	s_wait_alu 0xf1ff
	v_add_co_ci_u32_e64 v47, null, s7, 0, s2
	v_lshlrev_b16 v21, 3, v20
	global_load_b64 v[46:47], v[46:47], off offset:96
	v_and_b32_e32 v21, 0xffff, v21
	s_delay_alu instid0(VALU_DEP_1) | instskip(SKIP_4) | instid1(VALU_DEP_3)
	v_add_co_u32 v48, s2, s6, v21
	v_mul_lo_u16 v21, v7, 27
	s_wait_alu 0xf1ff
	v_add_co_ci_u32_e64 v49, null, s7, 0, s2
	v_add_co_u32 v50, s2, s6, v50
	v_sub_nc_u16 v21, v110, v21
	s_wait_alu 0xf1ff
	v_add_co_ci_u32_e64 v51, null, s7, 0, s2
	s_delay_alu instid0(VALU_DEP_2) | instskip(NEXT) | instid1(VALU_DEP_1)
	v_lshlrev_b16 v52, 3, v21
	v_and_b32_e32 v52, 0xffff, v52
	s_delay_alu instid0(VALU_DEP_1)
	v_add_co_u32 v52, s2, s6, v52
	s_wait_alu 0xf1ff
	v_add_co_ci_u32_e64 v53, null, s7, 0, s2
	v_add_co_u32 v54, s2, s6, v54
	s_wait_alu 0xf1ff
	v_add_co_ci_u32_e64 v55, null, s7, 0, s2
	s_clause 0x3
	global_load_b64 v[48:49], v[48:49], off offset:96
	global_load_b64 v[50:51], v[50:51], off offset:96
	;; [unrolled: 1-line block ×4, first 2 shown]
	ds_load_b32 v91, v120 offset:25272
	ds_load_2addr_b32 v[59:60], v176 offset0:6 offset1:249
	ds_load_2addr_b32 v[64:65], v171 offset0:6 offset1:249
	;; [unrolled: 1-line block ×9, first 2 shown]
	ds_load_2addr_b32 v[86:87], v139 offset1:243
	global_wb scope:SCOPE_SE
	s_wait_loadcnt_dscnt 0x0
	s_barrier_signal -1
	s_barrier_wait -1
	global_inv scope:SCOPE_SE
	ds_store_2addr_b32 v22, v14, v16 offset1:27
	v_lshrrev_b32_e32 v14, 16, v61
	ds_store_b32 v22, v15 offset:216
	scratch_store_b32 off, v22, off offset:316 ; 4-byte Folded Spill
	v_mov_b32_e32 v22, v0
	v_mul_f16_e64 v16, v14, v159
	v_lshrrev_b32_e32 v10, 16, v59
	scratch_store_b32 off, v22, off offset:320 ; 4-byte Folded Spill
	v_fma_f16 v16, v61, v41, -v16
	v_mul_f16_e64 v61, v61, v159
	s_delay_alu instid0(VALU_DEP_1) | instskip(SKIP_1) | instid1(VALU_DEP_1)
	v_fmac_f16_e32 v61, v14, v41
	v_mul_f16_e64 v14, v59, v156
	v_fmac_f16_e32 v14, v10, v40
	v_mul_f16_e64 v10, v10, v156
	s_delay_alu instid0(VALU_DEP_2) | instskip(NEXT) | instid1(VALU_DEP_2)
	v_add_f16_e32 v93, v14, v61
	v_fma_f16 v10, v59, v40, -v10
	v_lshrrev_b32_e32 v59, 16, v63
	s_delay_alu instid0(VALU_DEP_2) | instskip(SKIP_2) | instid1(VALU_DEP_3)
	v_add_f16_e32 v19, v10, v16
	v_add_f16_e32 v92, v63, v10
	v_sub_f16_e32 v10, v10, v16
	v_fmac_f16_e32 v63, -0.5, v19
	v_add_f16_e32 v19, v59, v14
	v_sub_f16_e32 v14, v14, v61
	v_fmac_f16_e32 v59, -0.5, v93
	v_add_f16_e32 v17, v92, v16
	s_delay_alu instid0(VALU_DEP_4) | instskip(NEXT) | instid1(VALU_DEP_4)
	v_add_f16_e32 v19, v19, v61
	v_fmamk_f16 v15, v14, 0x3aee, v63
	s_delay_alu instid0(VALU_DEP_4)
	v_fmamk_f16 v16, v10, 0xbaee, v59
	v_fmac_f16_e32 v63, 0xbaee, v14
	v_fmac_f16_e32 v59, 0x3aee, v10
	v_pack_b32_f16 v12, v17, v19
	v_lshrrev_b32_e32 v10, 16, v60
	v_pack_b32_f16 v15, v15, v16
	v_mul_f16_e64 v14, v60, v148
	v_lshrrev_b32_e32 v16, 16, v64
	ds_store_2addr_b32 v0, v12, v15 offset1:27
	v_mul_f16_e64 v12, v10, v148
	v_fmac_f16_e32 v14, v10, v42
	v_lshrrev_b32_e32 v10, 16, v66
	v_mul_f16_e64 v15, v66, v146
	v_pack_b32_f16 v0, v63, v59
	v_fma_f16 v12, v60, v42, -v12
	v_add_f16_e32 v17, v16, v14
	s_delay_alu instid0(VALU_DEP_4)
	v_fmac_f16_e32 v15, v10, v43
	v_mul_f16_e64 v10, v10, v146
	ds_store_b32 v22, v0 offset:216
	v_mad_u16 v0, 0x51, v2, v11
	v_add_f16_e32 v19, v14, v15
	v_fma_f16 v10, v66, v43, -v10
	v_sub_f16_e32 v14, v14, v15
	v_add_f16_e32 v15, v17, v15
	v_add_f16_e32 v17, v64, v12
	v_fmac_f16_e32 v16, -0.5, v19
	v_add_f16_e32 v19, v12, v10
	v_and_b32_e32 v0, 0xffff, v0
	s_delay_alu instid0(VALU_DEP_4) | instskip(SKIP_1) | instid1(VALU_DEP_4)
	v_add_f16_e32 v17, v17, v10
	v_sub_f16_e32 v10, v12, v10
	v_fma_f16 v11, -0.5, v19, v64
	s_delay_alu instid0(VALU_DEP_4) | instskip(NEXT) | instid1(VALU_DEP_4)
	v_lshlrev_b32_e32 v0, 2, v0
	v_pack_b32_f16 v2, v17, v15
	s_delay_alu instid0(VALU_DEP_4) | instskip(NEXT) | instid1(VALU_DEP_4)
	v_fmamk_f16 v15, v10, 0xbaee, v16
	v_fmamk_f16 v12, v14, 0x3aee, v11
	s_delay_alu instid0(VALU_DEP_4)
	v_mov_b32_e32 v22, v0
	v_fmac_f16_e32 v11, 0xbaee, v14
	v_lshrrev_b32_e32 v14, 16, v44
	v_fmac_f16_e32 v16, 0x3aee, v10
	v_pack_b32_f16 v12, v12, v15
	v_lshrrev_b32_e32 v15, 16, v65
	s_delay_alu instid0(VALU_DEP_4) | instskip(NEXT) | instid1(VALU_DEP_4)
	v_mul_f16_e32 v10, v68, v14
	v_pack_b32_f16 v11, v11, v16
	ds_store_2addr_b32 v0, v2, v12 offset1:27
	v_lshrrev_b32_e32 v0, 16, v67
	v_mul_f16_e64 v12, v67, v144
	ds_store_b32 v22, v11 offset:216
	v_mul_f16_e64 v2, v0, v144
	v_fmac_f16_e32 v12, v0, v45
	v_lshrrev_b32_e32 v0, 16, v68
	s_delay_alu instid0(VALU_DEP_3) | instskip(NEXT) | instid1(VALU_DEP_2)
	v_fma_f16 v2, v67, v45, -v2
	v_fmac_f16_e32 v10, v0, v44
	v_mul_f16_e32 v0, v0, v14
	s_delay_alu instid0(VALU_DEP_2) | instskip(NEXT) | instid1(VALU_DEP_2)
	v_add_f16_e32 v19, v10, v12
	v_fma_f16 v0, v68, v44, -v0
	s_delay_alu instid0(VALU_DEP_1) | instskip(SKIP_2) | instid1(VALU_DEP_3)
	v_add_f16_e32 v14, v0, v2
	v_add_f16_e32 v17, v65, v0
	v_sub_f16_e32 v0, v0, v2
	v_fmac_f16_e32 v65, -0.5, v14
	v_add_f16_e32 v14, v15, v10
	v_sub_f16_e32 v10, v10, v12
	v_fmac_f16_e32 v15, -0.5, v19
	s_delay_alu instid0(VALU_DEP_3) | instskip(SKIP_4) | instid1(VALU_DEP_4)
	v_add_f16_e32 v12, v14, v12
	v_add_f16_e32 v14, v17, v2
	v_mad_u16 v2, 0x51, v3, v13
	v_fmamk_f16 v11, v10, 0x3aee, v65
	v_fmac_f16_e32 v65, 0xbaee, v10
	v_pack_b32_f16 v3, v14, v12
	v_fmamk_f16 v12, v0, 0xbaee, v15
	v_and_b32_e32 v2, 0xffff, v2
	v_fmac_f16_e32 v15, 0x3aee, v0
	s_delay_alu instid0(VALU_DEP_3) | instskip(NEXT) | instid1(VALU_DEP_3)
	v_pack_b32_f16 v11, v11, v12
	v_lshlrev_b32_e32 v2, 2, v2
	v_lshrrev_b32_e32 v12, 16, v70
	s_delay_alu instid0(VALU_DEP_4)
	v_pack_b32_f16 v0, v65, v15
	ds_store_2addr_b32 v2, v3, v11 offset1:27
	v_mov_b32_e32 v16, v2
	v_lshrrev_b32_e32 v2, 16, v69
	s_clause 0x1
	scratch_store_b32 off, v22, off offset:324
	scratch_store_b32 off, v16, off offset:328
	ds_store_b32 v16, v0 offset:216
	v_mad_u16 v0, 0x51, v4, v18
	s_delay_alu instid0(VALU_DEP_1) | instskip(NEXT) | instid1(VALU_DEP_1)
	v_and_b32_e32 v0, 0xffff, v0
	v_lshlrev_b32_e32 v0, 2, v0
	s_delay_alu instid0(VALU_DEP_1) | instskip(SKIP_2) | instid1(VALU_DEP_2)
	v_mov_b32_e32 v16, v0
	v_lshrrev_b32_e32 v172, 16, v46
	v_lshrrev_b32_e32 v181, 16, v47
	v_mul_f16_e64 v10, v69, v172
	v_mul_f16_e64 v3, v2, v172
	s_delay_alu instid0(VALU_DEP_3) | instskip(NEXT) | instid1(VALU_DEP_3)
	v_mul_f16_e64 v11, v72, v181
	v_fmac_f16_e32 v10, v2, v46
	v_lshrrev_b32_e32 v2, 16, v72
	s_delay_alu instid0(VALU_DEP_4) | instskip(NEXT) | instid1(VALU_DEP_3)
	v_fma_f16 v3, v69, v46, -v3
	v_add_f16_e32 v13, v12, v10
	s_delay_alu instid0(VALU_DEP_3) | instskip(SKIP_1) | instid1(VALU_DEP_2)
	v_fmac_f16_e32 v11, v2, v47
	v_mul_f16_e64 v2, v2, v181
	v_add_f16_e32 v14, v10, v11
	s_delay_alu instid0(VALU_DEP_2)
	v_fma_f16 v2, v72, v47, -v2
	v_sub_f16_e32 v10, v10, v11
	v_add_f16_e32 v11, v13, v11
	v_add_f16_e32 v13, v70, v3
	v_fmac_f16_e32 v12, -0.5, v14
	v_add_f16_e32 v14, v3, v2
	s_delay_alu instid0(VALU_DEP_3) | instskip(SKIP_1) | instid1(VALU_DEP_3)
	v_add_f16_e32 v13, v13, v2
	v_sub_f16_e32 v2, v3, v2
	v_fma_f16 v4, -0.5, v14, v70
	v_lshrrev_b32_e32 v187, 16, v49
	s_delay_alu instid0(VALU_DEP_4) | instskip(NEXT) | instid1(VALU_DEP_4)
	v_pack_b32_f16 v3, v13, v11
	v_fmamk_f16 v13, v2, 0xbaee, v12
	s_delay_alu instid0(VALU_DEP_4)
	v_fmamk_f16 v11, v10, 0x3aee, v4
	v_lshrrev_b32_e32 v189, 16, v48
	v_fmac_f16_e32 v12, 0x3aee, v2
	v_fmac_f16_e32 v4, 0xbaee, v10
	v_lshrrev_b32_e32 v192, 16, v50
	v_pack_b32_f16 v11, v11, v13
	v_mul_f16_e64 v2, v78, v189
	v_lshrrev_b32_e32 v13, 16, v71
	v_pack_b32_f16 v4, v4, v12
	v_lshrrev_b32_e32 v193, 16, v51
	ds_store_2addr_b32 v0, v3, v11 offset1:27
	v_lshrrev_b32_e32 v0, 16, v73
	v_mul_f16_e64 v11, v73, v187
	ds_store_b32 v16, v4 offset:216
	v_lshrrev_b32_e32 v194, 16, v53
	v_lshrrev_b32_e32 v195, 16, v52
	v_mul_f16_e64 v3, v0, v187
	v_fmac_f16_e32 v11, v0, v49
	v_lshrrev_b32_e32 v0, 16, v78
	v_lshrrev_b32_e32 v199, 16, v54
	;; [unrolled: 1-line block ×3, first 2 shown]
	v_fma_f16 v3, v73, v49, -v3
	s_delay_alu instid0(VALU_DEP_4) | instskip(SKIP_1) | instid1(VALU_DEP_2)
	v_fmac_f16_e32 v2, v0, v48
	v_mul_f16_e64 v0, v0, v189
	v_add_f16_e32 v15, v2, v11
	s_delay_alu instid0(VALU_DEP_2) | instskip(NEXT) | instid1(VALU_DEP_1)
	v_fma_f16 v0, v78, v48, -v0
	v_add_f16_e32 v10, v0, v3
	v_add_f16_e32 v14, v71, v0
	v_sub_f16_e32 v0, v0, v3
	s_delay_alu instid0(VALU_DEP_3) | instskip(SKIP_3) | instid1(VALU_DEP_3)
	v_fmac_f16_e32 v71, -0.5, v10
	v_add_f16_e32 v10, v13, v2
	v_sub_f16_e32 v2, v2, v11
	v_fmac_f16_e32 v13, -0.5, v15
	v_add_f16_e32 v10, v10, v11
	v_add_f16_e32 v11, v14, v3
	v_mad_u16 v3, 0x51, v5, v20
	v_fmamk_f16 v5, v2, 0x3aee, v71
	v_fmac_f16_e32 v71, 0xbaee, v2
	v_lshrrev_b32_e32 v2, 16, v79
	v_pack_b32_f16 v4, v11, v10
	v_fmamk_f16 v10, v0, 0xbaee, v13
	v_and_b32_e32 v3, 0xffff, v3
	v_fmac_f16_e32 v13, 0x3aee, v0
	s_delay_alu instid0(VALU_DEP_3) | instskip(NEXT) | instid1(VALU_DEP_3)
	v_pack_b32_f16 v5, v5, v10
	v_lshlrev_b32_e32 v3, 2, v3
	v_lshrrev_b32_e32 v10, 16, v80
	s_delay_alu instid0(VALU_DEP_4)
	v_pack_b32_f16 v0, v71, v13
	ds_store_2addr_b32 v3, v4, v5 offset1:27
	v_mul_f16_e64 v4, v79, v192
	v_mov_b32_e32 v14, v3
	v_mul_f16_e64 v3, v2, v192
	v_mul_f16_e64 v5, v84, v193
	scratch_store_b32 off, v16, off offset:332 ; 4-byte Folded Spill
	v_fmac_f16_e32 v4, v2, v50
	scratch_store_b32 off, v14, off offset:336 ; 4-byte Folded Spill
	v_lshrrev_b32_e32 v2, 16, v84
	v_fma_f16 v3, v79, v50, -v3
	ds_store_b32 v14, v0 offset:216
	v_add_f16_e32 v11, v10, v4
	v_mad_u16 v0, 0x51, v6, v62
	v_fmac_f16_e32 v5, v2, v51
	v_mul_f16_e64 v2, v2, v193
	v_mul_u32_u24_e32 v16, 0x6523, v95
	s_delay_alu instid0(VALU_DEP_4) | instskip(NEXT) | instid1(VALU_DEP_4)
	v_and_b32_e32 v0, 0xffff, v0
	v_add_f16_e32 v12, v4, v5
	v_sub_f16_e32 v4, v4, v5
	v_add_f16_e32 v5, v11, v5
	v_fma_f16 v2, v84, v51, -v2
	v_add_f16_e32 v11, v80, v3
	v_fmac_f16_e32 v10, -0.5, v12
	v_lshlrev_b32_e32 v0, 2, v0
	v_lshrrev_b32_e32 v16, 21, v16
	v_add_f16_e32 v12, v3, v2
	v_add_f16_e32 v11, v11, v2
	v_sub_f16_e32 v2, v3, v2
	v_mov_b32_e32 v14, v0
	v_mul_lo_u16 v18, 0x51, v16
	s_delay_alu instid0(VALU_DEP_4)
	v_pack_b32_f16 v3, v11, v5
	v_fma_f16 v5, -0.5, v12, v80
	v_fmamk_f16 v11, v2, 0xbaee, v10
	v_fmac_f16_e32 v10, 0x3aee, v2
	v_mul_f16_e64 v2, v86, v195
	v_sub_nc_u16 v18, v112, v18
	v_fmamk_f16 v6, v4, 0x3aee, v5
	v_fmac_f16_e32 v5, 0xbaee, v4
	s_delay_alu instid0(VALU_DEP_3) | instskip(NEXT) | instid1(VALU_DEP_3)
	v_lshlrev_b16 v20, 3, v18
	v_pack_b32_f16 v6, v6, v11
	v_lshrrev_b32_e32 v11, 16, v81
	s_delay_alu instid0(VALU_DEP_4) | instskip(NEXT) | instid1(VALU_DEP_4)
	v_pack_b32_f16 v5, v5, v10
	v_and_b32_e32 v20, 0xffff, v20
	ds_store_2addr_b32 v0, v3, v6 offset1:27
	v_lshrrev_b32_e32 v0, 16, v85
	v_mul_f16_e64 v6, v85, v194
	ds_store_b32 v14, v5 offset:216
	v_mul_f16_e64 v3, v0, v194
	v_fmac_f16_e32 v6, v0, v53
	v_lshrrev_b32_e32 v0, 16, v86
	s_delay_alu instid0(VALU_DEP_3) | instskip(NEXT) | instid1(VALU_DEP_2)
	v_fma_f16 v3, v85, v53, -v3
	v_fmac_f16_e32 v2, v0, v52
	v_mul_f16_e64 v0, v0, v195
	s_delay_alu instid0(VALU_DEP_2) | instskip(NEXT) | instid1(VALU_DEP_2)
	v_add_f16_e32 v13, v2, v6
	v_fma_f16 v0, v86, v52, -v0
	s_delay_alu instid0(VALU_DEP_1) | instskip(SKIP_2) | instid1(VALU_DEP_3)
	v_add_f16_e32 v4, v0, v3
	v_add_f16_e32 v12, v81, v0
	v_sub_f16_e32 v0, v0, v3
	v_fmac_f16_e32 v81, -0.5, v4
	v_add_f16_e32 v4, v11, v2
	v_sub_f16_e32 v2, v2, v6
	v_fmac_f16_e32 v11, -0.5, v13
	s_delay_alu instid0(VALU_DEP_3)
	v_add_f16_e32 v4, v4, v6
	v_add_f16_e32 v6, v12, v3
	v_mad_u16 v3, 0x51, v7, v21
	v_fmamk_f16 v5, v2, 0x3aee, v81
	v_fmac_f16_e32 v81, 0xbaee, v2
	v_lshrrev_b32_e32 v2, 16, v87
	v_pack_b32_f16 v4, v6, v4
	v_fmamk_f16 v6, v0, 0xbaee, v11
	v_and_b32_e32 v3, 0xffff, v3
	v_fmac_f16_e32 v11, 0x3aee, v0
	v_lshrrev_b32_e32 v7, 16, v58
	s_delay_alu instid0(VALU_DEP_4) | instskip(NEXT) | instid1(VALU_DEP_4)
	v_pack_b32_f16 v5, v5, v6
	v_lshlrev_b32_e32 v3, 2, v3
	v_mul_f16_e64 v6, v91, v198
	v_pack_b32_f16 v0, v81, v11
	ds_store_2addr_b32 v3, v4, v5 offset1:27
	v_mul_f16_e64 v4, v87, v199
	v_mov_b32_e32 v12, v3
	v_mul_f16_e64 v3, v2, v199
	scratch_store_b32 off, v14, off offset:340 ; 4-byte Folded Spill
	v_fmac_f16_e32 v4, v2, v54
	scratch_store_b32 off, v12, off offset:344 ; 4-byte Folded Spill
	v_lshrrev_b32_e32 v2, 16, v91
	v_fma_f16 v3, v87, v54, -v3
	ds_store_b32 v12, v0 offset:216
	v_mul_f16_e64 v5, v2, v198
	v_fmac_f16_e32 v6, v2, v55
	v_add_f16_e32 v10, v58, v3
	s_delay_alu instid0(VALU_DEP_3) | instskip(NEXT) | instid1(VALU_DEP_1)
	v_fma_f16 v5, v91, v55, -v5
	v_add_f16_e32 v2, v3, v5
	s_delay_alu instid0(VALU_DEP_1) | instskip(SKIP_1) | instid1(VALU_DEP_1)
	v_fmac_f16_e32 v58, -0.5, v2
	v_sub_f16_e32 v2, v4, v6
	v_fmamk_f16 v11, v2, 0x3aee, v58
	v_fmac_f16_e32 v58, 0xbaee, v2
	v_add_f16_e32 v2, v4, v6
	v_add_f16_e32 v4, v7, v4
	s_delay_alu instid0(VALU_DEP_2) | instskip(SKIP_2) | instid1(VALU_DEP_4)
	v_fmac_f16_e32 v7, -0.5, v2
	v_sub_f16_e32 v2, v3, v5
	v_add_f16_e32 v5, v10, v5
	v_add_f16_e32 v4, v4, v6
	v_mad_u16 v6, 0x51, v8, v90
	s_delay_alu instid0(VALU_DEP_4) | instskip(SKIP_1) | instid1(VALU_DEP_4)
	v_fmamk_f16 v3, v2, 0xbaee, v7
	v_fmac_f16_e32 v7, 0x3aee, v2
	v_pack_b32_f16 v0, v5, v4
	s_delay_alu instid0(VALU_DEP_4) | instskip(SKIP_3) | instid1(VALU_DEP_4)
	v_and_b32_e32 v4, 0xffff, v6
	v_mul_u32_u24_e32 v5, 0x6523, v74
	v_pack_b32_f16 v3, v11, v3
	v_pack_b32_f16 v2, v58, v7
	v_lshlrev_b32_e32 v4, 2, v4
	s_delay_alu instid0(VALU_DEP_4)
	v_lshrrev_b32_e32 v5, 21, v5
	ds_store_2addr_b32 v4, v0, v3 offset1:27
	v_mul_lo_u16 v0, 0xcb, v57
	ds_store_b32 v4, v2 offset:216
	v_mul_u32_u24_e32 v2, 0x6523, v56
	v_mul_lo_u16 v7, 0x51, v5
	v_lshrrev_b16 v0, 14, v0
	s_delay_alu instid0(VALU_DEP_3) | instskip(NEXT) | instid1(VALU_DEP_3)
	v_lshrrev_b32_e32 v2, 21, v2
	v_sub_nc_u16 v7, v88, v7
	s_delay_alu instid0(VALU_DEP_3) | instskip(SKIP_1) | instid1(VALU_DEP_3)
	v_mul_lo_u16 v3, 0x51, v0
	v_and_b32_e32 v0, 0xffff, v0
	v_lshlrev_b16 v10, 3, v7
	s_delay_alu instid0(VALU_DEP_3) | instskip(SKIP_1) | instid1(VALU_DEP_4)
	v_sub_nc_u16 v1, v1, v3
	v_mul_lo_u16 v3, 0x51, v2
	v_mul_u32_u24_e32 v0, 0xf3, v0
	s_delay_alu instid0(VALU_DEP_4) | instskip(NEXT) | instid1(VALU_DEP_4)
	v_and_b32_e32 v10, 0xffff, v10
	v_and_b32_e32 v1, 0xff, v1
	s_delay_alu instid0(VALU_DEP_4) | instskip(NEXT) | instid1(VALU_DEP_2)
	v_sub_nc_u16 v3, v83, v3
	v_add_lshl_u32 v22, v0, v1, 2
	scratch_store_b32 off, v4, off offset:348 ; 4-byte Folded Spill
	v_lshlrev_b16 v4, 3, v3
	global_wb scope:SCOPE_SE
	s_wait_storecnt_dscnt 0x0
	s_barrier_signal -1
	s_barrier_wait -1
	global_inv scope:SCOPE_SE
	v_and_b32_e32 v4, 0xffff, v4
	s_delay_alu instid0(VALU_DEP_1) | instskip(SKIP_3) | instid1(VALU_DEP_2)
	v_add_co_u32 v56, s2, s6, v4
	v_mul_u32_u24_e32 v4, 0x6523, v75
	s_wait_alu 0xf1ff
	v_add_co_ci_u32_e64 v57, null, s7, 0, s2
	v_lshrrev_b32_e32 v4, 21, v4
	s_delay_alu instid0(VALU_DEP_1) | instskip(NEXT) | instid1(VALU_DEP_1)
	v_mul_lo_u16 v6, 0x51, v4
	v_sub_nc_u16 v6, v82, v6
	s_delay_alu instid0(VALU_DEP_1) | instskip(NEXT) | instid1(VALU_DEP_1)
	v_lshlrev_b16 v8, 3, v6
	v_and_b32_e32 v8, 0xffff, v8
	s_delay_alu instid0(VALU_DEP_1)
	v_add_co_u32 v60, s2, s6, v8
	s_wait_alu 0xf1ff
	v_add_co_ci_u32_e64 v61, null, s7, 0, s2
	v_add_co_u32 v62, s2, s6, v10
	v_lshlrev_b32_e32 v8, 3, v1
	s_wait_alu 0xf1ff
	v_add_co_ci_u32_e64 v63, null, s7, 0, s2
	s_clause 0x3
	global_load_b64 v[58:59], v[56:57], off offset:312
	global_load_b64 v[60:61], v[60:61], off offset:312
	;; [unrolled: 1-line block ×3, first 2 shown]
	global_load_b64 v[56:57], v8, s[6:7] offset:312
	ds_load_2addr_b32 v[78:79], v186 offset0:8 offset1:251
	ds_load_2addr_b32 v[80:81], v185 offset0:6 offset1:249
	ds_load_2addr_b32 v[84:85], v120 offset1:243
	s_wait_dscnt 0x2
	v_lshrrev_b32_e32 v8, 16, v79
	s_wait_dscnt 0x1
	v_lshrrev_b32_e32 v11, 16, v80
	;; [unrolled: 2-line block ×3, first 2 shown]
	s_wait_loadcnt 0x3
	v_lshrrev_b32_e32 v196, 16, v59
	v_lshrrev_b32_e32 v197, 16, v58
	s_wait_loadcnt 0x2
	v_lshrrev_b32_e32 v140, 16, v60
	s_wait_loadcnt 0x0
	v_lshrrev_b32_e32 v149, 16, v56
	v_lshrrev_b32_e32 v145, 16, v57
	;; [unrolled: 1-line block ×5, first 2 shown]
	v_mul_f16_e64 v10, v79, v149
	v_mul_f16_e64 v12, v80, v145
	s_delay_alu instid0(VALU_DEP_2) | instskip(NEXT) | instid1(VALU_DEP_2)
	v_fmac_f16_e32 v10, v8, v56
	v_fmac_f16_e32 v12, v11, v57
	v_mul_f16_e64 v8, v8, v149
	v_mul_f16_e64 v11, v11, v145
	s_delay_alu instid0(VALU_DEP_4) | instskip(NEXT) | instid1(VALU_DEP_4)
	v_add_f16_e32 v14, v13, v10
	v_add_f16_e32 v15, v10, v12
	s_delay_alu instid0(VALU_DEP_4) | instskip(NEXT) | instid1(VALU_DEP_4)
	v_fma_f16 v8, v79, v56, -v8
	v_fma_f16 v11, v80, v57, -v11
	v_sub_f16_e32 v10, v10, v12
	v_add_f16_e32 v12, v14, v12
	v_fmac_f16_e32 v13, -0.5, v15
	v_add_f16_e32 v14, v84, v8
	v_add_f16_e32 v15, v8, v11
	v_sub_f16_e32 v8, v8, v11
	s_delay_alu instid0(VALU_DEP_3) | instskip(NEXT) | instid1(VALU_DEP_3)
	v_add_f16_e32 v14, v14, v11
	v_fma_f16 v1, -0.5, v15, v84
	s_delay_alu instid0(VALU_DEP_2) | instskip(NEXT) | instid1(VALU_DEP_2)
	v_pack_b32_f16 v0, v14, v12
	v_fmamk_f16 v11, v10, 0x3aee, v1
	v_fmamk_f16 v12, v8, 0xbaee, v13
	v_fmac_f16_e32 v13, 0x3aee, v8
	v_fmac_f16_e32 v1, 0xbaee, v10
	s_delay_alu instid0(VALU_DEP_3) | instskip(SKIP_1) | instid1(VALU_DEP_3)
	v_pack_b32_f16 v11, v11, v12
	v_mul_u32_u24_e32 v12, 0x6523, v77
	v_pack_b32_f16 v1, v1, v13
	s_delay_alu instid0(VALU_DEP_2) | instskip(NEXT) | instid1(VALU_DEP_1)
	v_lshrrev_b32_e32 v12, 21, v12
	v_mul_lo_u16 v14, 0x51, v12
	s_delay_alu instid0(VALU_DEP_1) | instskip(NEXT) | instid1(VALU_DEP_1)
	v_sub_nc_u16 v14, v113, v14
	v_lshlrev_b16 v15, 3, v14
	s_delay_alu instid0(VALU_DEP_1) | instskip(NEXT) | instid1(VALU_DEP_1)
	v_and_b32_e32 v15, 0xffff, v15
	v_add_co_u32 v64, s2, s6, v15
	v_mul_u32_u24_e32 v15, 0x6523, v76
	s_wait_alu 0xf1ff
	v_add_co_ci_u32_e64 v65, null, s7, 0, s2
	s_delay_alu instid0(VALU_DEP_2) | instskip(SKIP_2) | instid1(VALU_DEP_1)
	v_lshrrev_b32_e32 v15, 21, v15
	global_load_b64 v[64:65], v[64:65], off offset:312
	v_mul_lo_u16 v17, 0x51, v15
	v_sub_nc_u16 v17, v111, v17
	s_delay_alu instid0(VALU_DEP_1) | instskip(NEXT) | instid1(VALU_DEP_1)
	v_lshlrev_b16 v19, 3, v17
	v_and_b32_e32 v19, 0xffff, v19
	s_delay_alu instid0(VALU_DEP_1)
	v_add_co_u32 v66, s2, s6, v19
	v_mul_u32_u24_e32 v19, 0x6523, v94
	s_wait_alu 0xf1ff
	v_add_co_ci_u32_e64 v67, null, s7, 0, s2
	v_add_co_u32 v68, s2, s6, v20
	v_mul_u32_u24_e32 v20, 0x6523, v89
	v_lshrrev_b32_e32 v19, 21, v19
	s_wait_alu 0xf1ff
	v_add_co_ci_u32_e64 v69, null, s7, 0, s2
	s_delay_alu instid0(VALU_DEP_3) | instskip(NEXT) | instid1(VALU_DEP_3)
	v_lshrrev_b32_e32 v20, 21, v20
	v_mul_lo_u16 v21, 0x51, v19
	s_delay_alu instid0(VALU_DEP_2) | instskip(NEXT) | instid1(VALU_DEP_2)
	v_mul_lo_u16 v70, 0x51, v20
	v_sub_nc_u16 v21, v110, v21
	s_delay_alu instid0(VALU_DEP_2) | instskip(NEXT) | instid1(VALU_DEP_2)
	v_sub_nc_u16 v84, v9, v70
	v_lshlrev_b16 v70, 3, v21
	s_delay_alu instid0(VALU_DEP_2) | instskip(NEXT) | instid1(VALU_DEP_2)
	v_lshlrev_b16 v71, 3, v84
	v_and_b32_e32 v70, 0xffff, v70
	s_delay_alu instid0(VALU_DEP_2) | instskip(NEXT) | instid1(VALU_DEP_2)
	v_and_b32_e32 v72, 0xffff, v71
	v_add_co_u32 v70, s2, s6, v70
	s_wait_alu 0xf1ff
	v_add_co_ci_u32_e64 v71, null, s7, 0, s2
	s_delay_alu instid0(VALU_DEP_3)
	v_add_co_u32 v72, s2, s6, v72
	s_wait_alu 0xf1ff
	v_add_co_ci_u32_e64 v73, null, s7, 0, s2
	s_clause 0x3
	global_load_b64 v[66:67], v[66:67], off offset:312
	global_load_b64 v[68:69], v[68:69], off offset:312
	;; [unrolled: 1-line block ×4, first 2 shown]
	ds_load_b32 v108, v120 offset:25272
	ds_load_2addr_b32 v[79:80], v176 offset0:6 offset1:249
	ds_load_2addr_b32 v[86:87], v171 offset0:6 offset1:249
	ds_load_2addr_b32 v[90:91], v179 offset0:12 offset1:255
	ds_load_2addr_b32 v[92:93], v160 offset0:4 offset1:247
	ds_load_2addr_b32 v[96:97], v157 offset0:12 offset1:255
	ds_load_2addr_b32 v[98:99], v158 offset0:2 offset1:245
	ds_load_2addr_b32 v[100:101], v147 offset0:10 offset1:253
	ds_load_2addr_b32 v[102:103], v141 offset0:2 offset1:245
	ds_load_2addr_b32 v[104:105], v142 offset0:8 offset1:251
	ds_load_2addr_b32 v[106:107], v139 offset1:243
	global_wb scope:SCOPE_SE
	s_wait_loadcnt_dscnt 0x0
	s_barrier_signal -1
	s_barrier_wait -1
	global_inv scope:SCOPE_SE
	ds_store_2addr_b32 v22, v0, v11 offset1:81
	v_lshrrev_b32_e32 v0, 16, v81
	ds_store_b32 v22, v1 offset:648
	v_mad_u16 v1, 0xf3, v2, v3
	scratch_store_b32 off, v22, off offset:352 ; 4-byte Folded Spill
	v_mul_f16_e64 v11, v0, v196
	v_mul_f16_e64 v8, v79, v197
	v_and_b32_e32 v1, 0xffff, v1
	s_delay_alu instid0(VALU_DEP_3) | instskip(SKIP_1) | instid1(VALU_DEP_3)
	v_fma_f16 v11, v81, v59, -v11
	v_mul_f16_e64 v81, v81, v196
	v_lshlrev_b32_e32 v166, 2, v1
	v_lshrrev_b32_e32 v1, 16, v80
	s_delay_alu instid0(VALU_DEP_3) | instskip(SKIP_1) | instid1(VALU_DEP_1)
	v_fmac_f16_e32 v81, v0, v59
	v_lshrrev_b32_e32 v0, 16, v79
	v_fmac_f16_e32 v8, v0, v58
	v_mul_f16_e64 v0, v0, v197
	s_delay_alu instid0(VALU_DEP_2) | instskip(NEXT) | instid1(VALU_DEP_2)
	v_add_f16_e32 v114, v8, v81
	v_fma_f16 v0, v79, v58, -v0
	v_lshrrev_b32_e32 v79, 16, v85
	s_delay_alu instid0(VALU_DEP_2) | instskip(SKIP_2) | instid1(VALU_DEP_3)
	v_add_f16_e32 v10, v0, v11
	v_add_f16_e32 v109, v85, v0
	v_sub_f16_e32 v0, v0, v11
	v_fmac_f16_e32 v85, -0.5, v10
	v_add_f16_e32 v10, v79, v8
	v_sub_f16_e32 v8, v8, v81
	v_fmac_f16_e32 v79, -0.5, v114
	v_add_f16_e32 v13, v109, v11
	s_delay_alu instid0(VALU_DEP_4) | instskip(NEXT) | instid1(VALU_DEP_4)
	v_add_f16_e32 v10, v10, v81
	v_fmamk_f16 v3, v8, 0x3aee, v85
	v_fmac_f16_e32 v85, 0xbaee, v8
	v_mul_f16_e64 v8, v90, v200
	s_delay_alu instid0(VALU_DEP_4) | instskip(SKIP_2) | instid1(VALU_DEP_2)
	v_pack_b32_f16 v2, v13, v10
	v_fmamk_f16 v10, v0, 0xbaee, v79
	v_fmac_f16_e32 v79, 0x3aee, v0
	v_pack_b32_f16 v3, v3, v10
	v_lshrrev_b32_e32 v10, 16, v86
	s_delay_alu instid0(VALU_DEP_3)
	v_pack_b32_f16 v0, v85, v79
	ds_store_2addr_b32 v166, v2, v3 offset1:81
	v_mul_f16_e64 v3, v80, v140
	v_mul_f16_e64 v2, v1, v140
	ds_store_b32 v166, v0 offset:648
	v_mad_u16 v0, 0xf3, v4, v6
	v_fmac_f16_e32 v3, v1, v60
	v_lshrrev_b32_e32 v1, 16, v90
	v_fma_f16 v2, v80, v60, -v2
	s_delay_alu instid0(VALU_DEP_4) | instskip(NEXT) | instid1(VALU_DEP_4)
	v_and_b32_e32 v0, 0xffff, v0
	v_add_f16_e32 v11, v10, v3
	s_delay_alu instid0(VALU_DEP_4) | instskip(SKIP_1) | instid1(VALU_DEP_4)
	v_fmac_f16_e32 v8, v1, v61
	v_mul_f16_e64 v1, v1, v200
	v_lshlrev_b32_e32 v167, 2, v0
	v_lshrrev_b32_e32 v0, 16, v91
	s_delay_alu instid0(VALU_DEP_4) | instskip(NEXT) | instid1(VALU_DEP_4)
	v_add_f16_e32 v13, v3, v8
	v_fma_f16 v1, v90, v61, -v1
	v_sub_f16_e32 v3, v3, v8
	v_add_f16_e32 v8, v11, v8
	v_add_f16_e32 v11, v86, v2
	v_fmac_f16_e32 v10, -0.5, v13
	v_add_f16_e32 v13, v2, v1
	s_delay_alu instid0(VALU_DEP_3) | instskip(SKIP_1) | instid1(VALU_DEP_3)
	v_add_f16_e32 v11, v11, v1
	v_sub_f16_e32 v1, v2, v1
	v_fma_f16 v4, -0.5, v13, v86
	s_delay_alu instid0(VALU_DEP_3) | instskip(NEXT) | instid1(VALU_DEP_3)
	v_pack_b32_f16 v2, v11, v8
	v_fmamk_f16 v8, v1, 0xbaee, v10
	s_delay_alu instid0(VALU_DEP_3) | instskip(SKIP_3) | instid1(VALU_DEP_4)
	v_fmamk_f16 v6, v3, 0x3aee, v4
	v_fmac_f16_e32 v10, 0x3aee, v1
	v_mul_f16_e64 v1, v92, v201
	v_fmac_f16_e32 v4, 0xbaee, v3
	v_pack_b32_f16 v6, v6, v8
	v_lshrrev_b32_e32 v8, 16, v87
	s_delay_alu instid0(VALU_DEP_3)
	v_pack_b32_f16 v4, v4, v10
	ds_store_2addr_b32 v167, v2, v6 offset1:81
	v_mul_f16_e64 v6, v91, v143
	v_mul_f16_e64 v2, v0, v143
	ds_store_b32 v167, v4 offset:648
	v_fmac_f16_e32 v6, v0, v63
	v_lshrrev_b32_e32 v0, 16, v92
	v_fma_f16 v2, v91, v63, -v2
	s_delay_alu instid0(VALU_DEP_2) | instskip(SKIP_1) | instid1(VALU_DEP_2)
	v_fmac_f16_e32 v1, v0, v62
	v_mul_f16_e64 v0, v0, v201
	v_add_f16_e32 v13, v1, v6
	s_delay_alu instid0(VALU_DEP_2) | instskip(NEXT) | instid1(VALU_DEP_1)
	v_fma_f16 v0, v92, v62, -v0
	v_add_f16_e32 v3, v0, v2
	v_add_f16_e32 v11, v87, v0
	v_sub_f16_e32 v0, v0, v2
	s_delay_alu instid0(VALU_DEP_3) | instskip(SKIP_3) | instid1(VALU_DEP_3)
	v_fmac_f16_e32 v87, -0.5, v3
	v_add_f16_e32 v3, v8, v1
	v_sub_f16_e32 v1, v1, v6
	v_fmac_f16_e32 v8, -0.5, v13
	v_add_f16_e32 v3, v3, v6
	v_add_f16_e32 v6, v11, v2
	v_mad_u16 v2, 0xf3, v5, v7
	v_fmamk_f16 v4, v1, 0x3aee, v87
	v_fmamk_f16 v5, v0, 0xbaee, v8
	v_fmac_f16_e32 v87, 0xbaee, v1
	v_pack_b32_f16 v3, v6, v3
	v_and_b32_e32 v2, 0xffff, v2
	v_lshrrev_b32_e32 v1, 16, v93
	v_pack_b32_f16 v4, v4, v5
	v_lshrrev_b32_e32 v5, 16, v96
	v_fmac_f16_e32 v8, 0x3aee, v0
	v_lshlrev_b32_e32 v180, 2, v2
	s_delay_alu instid0(VALU_DEP_2) | instskip(SKIP_3) | instid1(VALU_DEP_1)
	v_pack_b32_f16 v0, v87, v8
	ds_store_2addr_b32 v180, v3, v4 offset1:81
	ds_store_b32 v180, v0 offset:648
	v_mad_u16 v0, 0xf3, v12, v14
	v_and_b32_e32 v0, 0xffff, v0
	s_delay_alu instid0(VALU_DEP_1) | instskip(SKIP_3) | instid1(VALU_DEP_2)
	v_lshlrev_b32_e32 v182, 2, v0
	v_lshrrev_b32_e32 v0, 16, v99
	v_lshrrev_b32_e32 v202, 16, v64
	;; [unrolled: 1-line block ×3, first 2 shown]
	v_mul_f16_e64 v3, v93, v202
	v_mul_f16_e64 v2, v1, v202
	s_delay_alu instid0(VALU_DEP_3) | instskip(NEXT) | instid1(VALU_DEP_3)
	v_mul_f16_e64 v4, v98, v203
	v_fmac_f16_e32 v3, v1, v64
	v_lshrrev_b32_e32 v1, 16, v98
	s_delay_alu instid0(VALU_DEP_4) | instskip(NEXT) | instid1(VALU_DEP_3)
	v_fma_f16 v2, v93, v64, -v2
	v_add_f16_e32 v6, v5, v3
	s_delay_alu instid0(VALU_DEP_3) | instskip(SKIP_1) | instid1(VALU_DEP_2)
	v_fmac_f16_e32 v4, v1, v65
	v_mul_f16_e64 v1, v1, v203
	v_add_f16_e32 v7, v3, v4
	v_sub_f16_e32 v3, v3, v4
	v_add_f16_e32 v4, v6, v4
	s_delay_alu instid0(VALU_DEP_4) | instskip(SKIP_3) | instid1(VALU_DEP_4)
	v_fma_f16 v1, v98, v65, -v1
	v_add_f16_e32 v6, v96, v2
	v_fmac_f16_e32 v5, -0.5, v7
	v_lshlrev_b32_e32 v98, 3, v174
	v_add_f16_e32 v7, v2, v1
	s_delay_alu instid0(VALU_DEP_4) | instskip(SKIP_1) | instid1(VALU_DEP_2)
	v_add_f16_e32 v6, v6, v1
	v_sub_f16_e32 v1, v2, v1
	v_pack_b32_f16 v2, v6, v4
	s_delay_alu instid0(VALU_DEP_4) | instskip(NEXT) | instid1(VALU_DEP_3)
	v_fma_f16 v4, -0.5, v7, v96
	v_fmamk_f16 v7, v1, 0xbaee, v5
	v_fmac_f16_e32 v5, 0x3aee, v1
	s_delay_alu instid0(VALU_DEP_3) | instskip(SKIP_1) | instid1(VALU_DEP_2)
	v_fmamk_f16 v6, v3, 0x3aee, v4
	v_fmac_f16_e32 v4, 0xbaee, v3
	v_pack_b32_f16 v6, v6, v7
	v_lshrrev_b32_e32 v7, 16, v97
	s_delay_alu instid0(VALU_DEP_3)
	v_pack_b32_f16 v4, v4, v5
	ds_store_2addr_b32 v182, v2, v6 offset1:81
	ds_store_b32 v182, v4 offset:648
	v_lshrrev_b32_e32 v204, 16, v67
	v_lshrrev_b32_e32 v207, 16, v66
	;; [unrolled: 1-line block ×5, first 2 shown]
	v_mul_f16_e64 v6, v99, v204
	v_mul_f16_e64 v2, v0, v204
	;; [unrolled: 1-line block ×3, first 2 shown]
	v_lshrrev_b32_e32 v150, 16, v70
	v_lshrrev_b32_e32 v152, 16, v72
	v_fmac_f16_e32 v6, v0, v67
	v_lshrrev_b32_e32 v0, 16, v100
	v_fma_f16 v2, v99, v67, -v2
	v_lshrrev_b32_e32 v151, 16, v73
	s_delay_alu instid0(VALU_DEP_3) | instskip(SKIP_1) | instid1(VALU_DEP_2)
	v_fmac_f16_e32 v1, v0, v66
	v_mul_f16_e64 v0, v0, v207
	v_add_f16_e32 v10, v1, v6
	s_delay_alu instid0(VALU_DEP_2) | instskip(NEXT) | instid1(VALU_DEP_1)
	v_fma_f16 v0, v100, v66, -v0
	v_add_f16_e32 v3, v0, v2
	v_add_f16_e32 v8, v97, v0
	v_sub_f16_e32 v0, v0, v2
	s_delay_alu instid0(VALU_DEP_3)
	v_fmac_f16_e32 v97, -0.5, v3
	v_add_f16_e32 v3, v7, v1
	v_sub_f16_e32 v1, v1, v6
	v_fmac_f16_e32 v7, -0.5, v10
	v_add_f16_e32 v5, v8, v2
	v_mad_u16 v2, 0xf3, v15, v17
	v_add_f16_e32 v3, v3, v6
	v_fmamk_f16 v4, v1, 0x3aee, v97
	v_fmac_f16_e32 v97, 0xbaee, v1
	v_lshrrev_b32_e32 v1, 16, v101
	v_and_b32_e32 v2, 0xffff, v2
	v_pack_b32_f16 v3, v5, v3
	v_fmamk_f16 v5, v0, 0xbaee, v7
	v_fmac_f16_e32 v7, 0x3aee, v0
	s_delay_alu instid0(VALU_DEP_4) | instskip(SKIP_1) | instid1(VALU_DEP_4)
	v_lshlrev_b32_e32 v183, 2, v2
	v_mul_f16_e64 v2, v1, v210
	v_pack_b32_f16 v4, v4, v5
	v_lshrrev_b32_e32 v5, 16, v102
	v_pack_b32_f16 v0, v97, v7
	s_delay_alu instid0(VALU_DEP_4)
	v_fma_f16 v2, v101, v68, -v2
	ds_store_2addr_b32 v183, v3, v4 offset1:81
	v_mul_f16_e64 v3, v101, v210
	v_mul_f16_e64 v4, v104, v211
	ds_store_b32 v183, v0 offset:648
	v_mad_u16 v0, 0xf3, v16, v18
	v_fmac_f16_e32 v3, v1, v68
	v_lshrrev_b32_e32 v1, 16, v104
	s_delay_alu instid0(VALU_DEP_3) | instskip(NEXT) | instid1(VALU_DEP_3)
	v_and_b32_e32 v0, 0xffff, v0
	v_add_f16_e32 v6, v5, v3
	s_delay_alu instid0(VALU_DEP_3) | instskip(SKIP_1) | instid1(VALU_DEP_4)
	v_fmac_f16_e32 v4, v1, v69
	v_mul_f16_e64 v1, v1, v211
	v_lshlrev_b32_e32 v188, 2, v0
	v_lshrrev_b32_e32 v0, 16, v105
	s_delay_alu instid0(VALU_DEP_4)
	v_add_f16_e32 v7, v3, v4
	v_sub_f16_e32 v3, v3, v4
	v_add_f16_e32 v4, v6, v4
	v_fma_f16 v1, v104, v69, -v1
	v_add_f16_e32 v6, v102, v2
	v_fmac_f16_e32 v5, -0.5, v7
	s_delay_alu instid0(VALU_DEP_3) | instskip(NEXT) | instid1(VALU_DEP_3)
	v_add_f16_e32 v7, v2, v1
	v_add_f16_e32 v6, v6, v1
	v_sub_f16_e32 v1, v2, v1
	s_delay_alu instid0(VALU_DEP_2) | instskip(NEXT) | instid1(VALU_DEP_4)
	v_pack_b32_f16 v2, v6, v4
	v_fma_f16 v4, -0.5, v7, v102
	s_delay_alu instid0(VALU_DEP_3) | instskip(SKIP_2) | instid1(VALU_DEP_4)
	v_fmamk_f16 v7, v1, 0xbaee, v5
	v_fmac_f16_e32 v5, 0x3aee, v1
	v_mul_f16_e64 v1, v106, v150
	v_fmamk_f16 v6, v3, 0x3aee, v4
	v_fmac_f16_e32 v4, 0xbaee, v3
	s_delay_alu instid0(VALU_DEP_2) | instskip(SKIP_1) | instid1(VALU_DEP_3)
	v_pack_b32_f16 v6, v6, v7
	v_lshrrev_b32_e32 v7, 16, v103
	v_pack_b32_f16 v4, v4, v5
	ds_store_2addr_b32 v188, v2, v6 offset1:81
	v_mul_f16_e64 v6, v105, v212
	v_mul_f16_e64 v2, v0, v212
	ds_store_b32 v188, v4 offset:648
	v_fmac_f16_e32 v6, v0, v71
	v_lshrrev_b32_e32 v0, 16, v106
	v_fma_f16 v2, v105, v71, -v2
	s_delay_alu instid0(VALU_DEP_2) | instskip(SKIP_1) | instid1(VALU_DEP_2)
	v_fmac_f16_e32 v1, v0, v70
	v_mul_f16_e64 v0, v0, v150
	v_add_f16_e32 v10, v1, v6
	s_delay_alu instid0(VALU_DEP_2) | instskip(NEXT) | instid1(VALU_DEP_1)
	v_fma_f16 v0, v106, v70, -v0
	v_add_f16_e32 v3, v0, v2
	v_add_f16_e32 v8, v103, v0
	v_sub_f16_e32 v0, v0, v2
	s_delay_alu instid0(VALU_DEP_3)
	v_fmac_f16_e32 v103, -0.5, v3
	v_add_f16_e32 v3, v7, v1
	v_sub_f16_e32 v1, v1, v6
	v_fmac_f16_e32 v7, -0.5, v10
	v_add_f16_e32 v5, v8, v2
	v_mad_u16 v2, 0xf3, v19, v21
	v_add_f16_e32 v3, v3, v6
	v_fmamk_f16 v4, v1, 0x3aee, v103
	v_fmac_f16_e32 v103, 0xbaee, v1
	v_lshrrev_b32_e32 v1, 16, v107
	v_and_b32_e32 v2, 0xffff, v2
	v_pack_b32_f16 v3, v5, v3
	v_fmamk_f16 v5, v0, 0xbaee, v7
	v_fmac_f16_e32 v7, 0x3aee, v0
	v_lshrrev_b32_e32 v6, 16, v78
	v_lshlrev_b32_e32 v190, 2, v2
	v_mul_f16_e64 v2, v1, v152
	v_pack_b32_f16 v4, v4, v5
	v_mul_f16_e64 v5, v108, v151
	v_pack_b32_f16 v0, v103, v7
	s_delay_alu instid0(VALU_DEP_4)
	v_fma_f16 v2, v107, v72, -v2
	ds_store_2addr_b32 v190, v3, v4 offset1:81
	v_mul_f16_e64 v3, v107, v152
	ds_store_b32 v190, v0 offset:648
	v_add_f16_e32 v7, v78, v2
	v_fmac_f16_e32 v3, v1, v72
	v_lshrrev_b32_e32 v1, 16, v108
	s_delay_alu instid0(VALU_DEP_1) | instskip(SKIP_1) | instid1(VALU_DEP_2)
	v_mul_f16_e64 v4, v1, v151
	v_fmac_f16_e32 v5, v1, v73
	v_fma_f16 v4, v108, v73, -v4
	s_delay_alu instid0(VALU_DEP_1) | instskip(NEXT) | instid1(VALU_DEP_1)
	v_add_f16_e32 v1, v2, v4
	v_fmac_f16_e32 v78, -0.5, v1
	s_delay_alu instid0(VALU_DEP_4) | instskip(NEXT) | instid1(VALU_DEP_1)
	v_sub_f16_e32 v1, v3, v5
	v_fmamk_f16 v8, v1, 0x3aee, v78
	v_fmac_f16_e32 v78, 0xbaee, v1
	v_add_f16_e32 v1, v3, v5
	v_add_f16_e32 v3, v6, v3
	s_delay_alu instid0(VALU_DEP_2) | instskip(SKIP_2) | instid1(VALU_DEP_4)
	v_fmac_f16_e32 v6, -0.5, v1
	v_sub_f16_e32 v1, v2, v4
	v_add_f16_e32 v4, v7, v4
	v_add_f16_e32 v3, v3, v5
	v_mad_u16 v5, 0xf3, v20, v84
	s_delay_alu instid0(VALU_DEP_4) | instskip(SKIP_1) | instid1(VALU_DEP_4)
	v_fmamk_f16 v2, v1, 0xbaee, v6
	v_fmac_f16_e32 v6, 0x3aee, v1
	v_pack_b32_f16 v0, v4, v3
	s_delay_alu instid0(VALU_DEP_4) | instskip(NEXT) | instid1(VALU_DEP_4)
	v_and_b32_e32 v3, 0xffff, v5
	v_pack_b32_f16 v2, v8, v2
	s_delay_alu instid0(VALU_DEP_4) | instskip(NEXT) | instid1(VALU_DEP_3)
	v_pack_b32_f16 v1, v78, v6
	v_lshlrev_b32_e32 v191, 2, v3
	ds_store_2addr_b32 v191, v0, v2 offset1:81
	ds_store_b32 v191, v1 offset:648
	v_mul_u32_u24_e32 v0, 0xdb3, v75
	global_wb scope:SCOPE_SE
	s_wait_storecnt_dscnt 0x0
	s_barrier_signal -1
	s_barrier_wait -1
	global_inv scope:SCOPE_SE
	v_lshrrev_b32_e32 v0, 16, v0
	s_delay_alu instid0(VALU_DEP_1) | instskip(NEXT) | instid1(VALU_DEP_1)
	v_sub_nc_u16 v1, v82, v0
	v_lshrrev_b16 v1, 1, v1
	s_delay_alu instid0(VALU_DEP_1) | instskip(SKIP_1) | instid1(VALU_DEP_2)
	v_add_nc_u16 v0, v1, v0
	v_mul_u32_u24_e32 v1, 0xdb3, v74
	v_lshrrev_b16 v0, 7, v0
	s_delay_alu instid0(VALU_DEP_2) | instskip(NEXT) | instid1(VALU_DEP_2)
	v_lshrrev_b32_e32 v1, 16, v1
	v_mul_lo_u16 v0, 0xf3, v0
	s_delay_alu instid0(VALU_DEP_2) | instskip(NEXT) | instid1(VALU_DEP_2)
	v_sub_nc_u16 v2, v88, v1
	v_sub_nc_u16 v0, v82, v0
	s_delay_alu instid0(VALU_DEP_2) | instskip(NEXT) | instid1(VALU_DEP_1)
	v_lshrrev_b16 v2, 1, v2
	v_add_nc_u16 v1, v2, v1
	v_mul_u32_u24_e32 v2, 0xdb3, v77
	s_delay_alu instid0(VALU_DEP_2) | instskip(NEXT) | instid1(VALU_DEP_2)
	v_lshrrev_b16 v1, 7, v1
	v_lshrrev_b32_e32 v2, 16, v2
	s_delay_alu instid0(VALU_DEP_2) | instskip(NEXT) | instid1(VALU_DEP_2)
	v_mul_lo_u16 v1, 0xf3, v1
	v_sub_nc_u16 v3, v113, v2
	s_delay_alu instid0(VALU_DEP_2) | instskip(NEXT) | instid1(VALU_DEP_2)
	v_sub_nc_u16 v1, v88, v1
	v_lshrrev_b16 v3, 1, v3
	s_delay_alu instid0(VALU_DEP_1) | instskip(SKIP_1) | instid1(VALU_DEP_2)
	v_add_nc_u16 v2, v3, v2
	v_mul_u32_u24_e32 v3, 0xdb3, v76
	v_lshrrev_b16 v2, 7, v2
	s_delay_alu instid0(VALU_DEP_2) | instskip(NEXT) | instid1(VALU_DEP_2)
	v_lshrrev_b32_e32 v3, 16, v3
	v_mul_lo_u16 v2, 0xf3, v2
	s_delay_alu instid0(VALU_DEP_2) | instskip(NEXT) | instid1(VALU_DEP_2)
	v_sub_nc_u16 v4, v111, v3
	v_sub_nc_u16 v2, v113, v2
	s_delay_alu instid0(VALU_DEP_2) | instskip(NEXT) | instid1(VALU_DEP_2)
	v_lshrrev_b16 v4, 1, v4
	v_lshlrev_b16 v8, 3, v2
	s_delay_alu instid0(VALU_DEP_2) | instskip(SKIP_2) | instid1(VALU_DEP_4)
	v_add_nc_u16 v3, v4, v3
	v_mul_u32_u24_e32 v4, 0xdb3, v95
	v_and_b32_e32 v2, 0xffff, v2
	v_and_b32_e32 v8, 0xffff, v8
	s_delay_alu instid0(VALU_DEP_4) | instskip(NEXT) | instid1(VALU_DEP_4)
	v_lshrrev_b16 v3, 7, v3
	v_lshrrev_b32_e32 v4, 16, v4
	s_delay_alu instid0(VALU_DEP_4) | instskip(NEXT) | instid1(VALU_DEP_3)
	v_lshlrev_b32_e32 v2, 2, v2
	v_mul_lo_u16 v3, 0xf3, v3
	s_delay_alu instid0(VALU_DEP_3) | instskip(NEXT) | instid1(VALU_DEP_2)
	v_sub_nc_u16 v5, v112, v4
	v_sub_nc_u16 v3, v111, v3
	s_delay_alu instid0(VALU_DEP_2) | instskip(NEXT) | instid1(VALU_DEP_1)
	v_lshrrev_b16 v5, 1, v5
	v_add_nc_u16 v4, v5, v4
	v_mul_u32_u24_e32 v5, 0xdb3, v94
	s_delay_alu instid0(VALU_DEP_2) | instskip(NEXT) | instid1(VALU_DEP_2)
	v_lshrrev_b16 v4, 7, v4
	v_lshrrev_b32_e32 v5, 16, v5
	s_delay_alu instid0(VALU_DEP_2) | instskip(NEXT) | instid1(VALU_DEP_2)
	v_mul_lo_u16 v4, 0xf3, v4
	v_sub_nc_u16 v6, v110, v5
	s_delay_alu instid0(VALU_DEP_2) | instskip(NEXT) | instid1(VALU_DEP_2)
	v_sub_nc_u16 v4, v112, v4
	v_lshrrev_b16 v6, 1, v6
	s_delay_alu instid0(VALU_DEP_2) | instskip(NEXT) | instid1(VALU_DEP_2)
	v_lshlrev_b16 v15, 3, v4
	v_add_nc_u16 v5, v6, v5
	v_mul_u32_u24_e32 v6, 0xdb3, v89
	v_and_b32_e32 v4, 0xffff, v4
	s_delay_alu instid0(VALU_DEP_4) | instskip(NEXT) | instid1(VALU_DEP_4)
	v_and_b32_e32 v15, 0xffff, v15
	v_lshrrev_b16 v5, 7, v5
	s_delay_alu instid0(VALU_DEP_4) | instskip(NEXT) | instid1(VALU_DEP_4)
	v_lshrrev_b32_e32 v6, 16, v6
	v_lshlrev_b32_e32 v4, 2, v4
	s_delay_alu instid0(VALU_DEP_3) | instskip(NEXT) | instid1(VALU_DEP_3)
	v_mul_lo_u16 v5, 0xf3, v5
	v_sub_nc_u16 v7, v9, v6
	s_delay_alu instid0(VALU_DEP_2) | instskip(NEXT) | instid1(VALU_DEP_2)
	v_sub_nc_u16 v5, v110, v5
	v_lshrrev_b16 v7, 1, v7
	s_delay_alu instid0(VALU_DEP_1) | instskip(SKIP_2) | instid1(VALU_DEP_3)
	v_add_nc_u16 v6, v7, v6
	v_lshlrev_b16 v7, 3, v0
	v_and_b32_e32 v0, 0xffff, v0
	v_lshrrev_b16 v6, 7, v6
	s_delay_alu instid0(VALU_DEP_3) | instskip(NEXT) | instid1(VALU_DEP_3)
	v_and_b32_e32 v7, 0xffff, v7
	v_lshlrev_b32_e32 v0, 2, v0
	s_delay_alu instid0(VALU_DEP_3) | instskip(NEXT) | instid1(VALU_DEP_3)
	v_mul_lo_u16 v6, 0xf3, v6
	v_add_co_u32 v74, s2, s6, v7
	v_lshlrev_b16 v7, 3, v1
	s_wait_alu 0xf1ff
	v_add_co_ci_u32_e64 v75, null, s7, 0, s2
	v_sub_nc_u16 v6, v9, v6
	s_delay_alu instid0(VALU_DEP_3) | instskip(SKIP_1) | instid1(VALU_DEP_2)
	v_dual_mov_b32 v22, v0 :: v_dual_and_b32 v7, 0xffff, v7
	v_and_b32_e32 v1, 0xffff, v1
	v_add_co_u32 v78, s2, s6, v7
	s_wait_alu 0xf1ff
	v_add_co_ci_u32_e64 v79, null, s7, 0, s2
	v_add_co_u32 v80, s2, s6, v8
	s_wait_alu 0xf1ff
	v_add_co_ci_u32_e64 v81, null, s7, 0, s2
	s_clause 0x3
	global_load_b64 v[76:77], v[74:75], off offset:960
	global_load_b64 v[78:79], v[78:79], off offset:960
	;; [unrolled: 1-line block ×3, first 2 shown]
	global_load_b64 v[74:75], v98, s[6:7] offset:960
	ds_load_2addr_b32 v[84:85], v186 offset0:8 offset1:251
	ds_load_2addr_b32 v[90:91], v185 offset0:6 offset1:249
	ds_load_2addr_b32 v[101:102], v120 offset1:243
	v_lshlrev_b32_e32 v1, 2, v1
	s_delay_alu instid0(VALU_DEP_1)
	v_mov_b32_e32 v23, v1
	s_wait_dscnt 0x2
	v_lshrrev_b32_e32 v7, 16, v85
	s_wait_dscnt 0x1
	v_lshrrev_b32_e32 v10, 16, v90
	;; [unrolled: 2-line block ×3, first 2 shown]
	s_wait_loadcnt 0x3
	v_lshrrev_b32_e32 v217, 16, v76
	v_lshrrev_b32_e32 v155, 16, v77
	s_wait_loadcnt 0x2
	v_lshrrev_b32_e32 v220, 16, v79
	s_wait_loadcnt 0x0
	v_lshrrev_b32_e32 v208, 16, v74
	v_lshrrev_b32_e32 v219, 16, v75
	;; [unrolled: 1-line block ×5, first 2 shown]
	v_mul_f16_e64 v8, v85, v208
	v_mul_f16_e64 v11, v90, v219
	s_delay_alu instid0(VALU_DEP_2) | instskip(SKIP_1) | instid1(VALU_DEP_3)
	v_fmac_f16_e32 v8, v7, v74
	v_mul_f16_e64 v7, v7, v208
	v_fmac_f16_e32 v11, v10, v75
	v_mul_f16_e64 v10, v10, v219
	s_delay_alu instid0(VALU_DEP_4) | instskip(NEXT) | instid1(VALU_DEP_4)
	v_add_f16_e32 v13, v12, v8
	v_fma_f16 v7, v85, v74, -v7
	s_delay_alu instid0(VALU_DEP_4)
	v_add_f16_e32 v14, v8, v11
	v_sub_f16_e32 v8, v8, v11
	v_fma_f16 v10, v90, v75, -v10
	v_add_f16_e32 v11, v13, v11
	v_add_f16_e32 v13, v101, v7
	v_fmac_f16_e32 v12, -0.5, v14
	s_delay_alu instid0(VALU_DEP_4) | instskip(SKIP_1) | instid1(VALU_DEP_4)
	v_add_f16_e32 v14, v7, v10
	v_sub_f16_e32 v7, v7, v10
	v_add_f16_e32 v13, v13, v10
	s_delay_alu instid0(VALU_DEP_1) | instskip(NEXT) | instid1(VALU_DEP_4)
	v_pack_b32_f16 v10, v13, v11
	v_fma_f16 v11, -0.5, v14, v101
	s_delay_alu instid0(VALU_DEP_4) | instskip(SKIP_1) | instid1(VALU_DEP_3)
	v_fmamk_f16 v14, v7, 0xbaee, v12
	v_fmac_f16_e32 v12, 0x3aee, v7
	v_fmamk_f16 v13, v8, 0x3aee, v11
	v_fmac_f16_e32 v11, 0xbaee, v8
	s_delay_alu instid0(VALU_DEP_2) | instskip(SKIP_1) | instid1(VALU_DEP_3)
	v_pack_b32_f16 v13, v13, v14
	v_lshlrev_b16 v14, 3, v3
	v_pack_b32_f16 v7, v11, v12
	v_lshrrev_b32_e32 v12, 16, v102
	v_and_b32_e32 v3, 0xffff, v3
	s_delay_alu instid0(VALU_DEP_4) | instskip(NEXT) | instid1(VALU_DEP_2)
	v_and_b32_e32 v14, 0xffff, v14
	v_lshlrev_b32_e32 v3, 2, v3
	s_delay_alu instid0(VALU_DEP_2)
	v_add_co_u32 v85, s2, s6, v14
	v_lshlrev_b16 v14, 3, v5
	s_wait_alu 0xf1ff
	v_add_co_ci_u32_e64 v86, null, s7, 0, s2
	v_add_co_u32 v92, s2, s6, v15
	v_lshlrev_b16 v15, 3, v6
	v_and_b32_e32 v14, 0xffff, v14
	s_wait_alu 0xf1ff
	v_add_co_ci_u32_e64 v93, null, s7, 0, s2
	v_and_b32_e32 v5, 0xffff, v5
	v_and_b32_e32 v15, 0xffff, v15
	v_add_co_u32 v96, s2, s6, v14
	s_wait_alu 0xf1ff
	v_add_co_ci_u32_e64 v97, null, s7, 0, s2
	s_delay_alu instid0(VALU_DEP_3)
	v_add_co_u32 v99, s2, s6, v15
	s_wait_alu 0xf1ff
	v_add_co_ci_u32_e64 v100, null, s7, 0, s2
	s_clause 0x3
	global_load_b64 v[86:87], v[85:86], off offset:960
	global_load_b64 v[92:93], v[92:93], off offset:960
	;; [unrolled: 1-line block ×4, first 2 shown]
	ds_load_b32 v14, v120 offset:25272
	ds_load_2addr_b32 v[103:104], v176 offset0:6 offset1:249
	ds_load_2addr_b32 v[105:106], v171 offset0:6 offset1:249
	;; [unrolled: 1-line block ×9, first 2 shown]
	ds_load_2addr_b32 v[213:214], v139 offset1:243
	global_wb scope:SCOPE_SE
	s_wait_loadcnt_dscnt 0x0
	s_barrier_signal -1
	s_barrier_wait -1
	global_inv scope:SCOPE_SE
	ds_store_2addr_b32 v120, v10, v13 offset1:243
	v_lshrrev_b32_e32 v10, 16, v91
	v_mul_f16_e64 v15, v91, v219
	v_lshlrev_b32_e32 v5, 2, v5
	v_and_b32_e32 v6, 0xffff, v6
	s_delay_alu instid0(VALU_DEP_4) | instskip(NEXT) | instid1(VALU_DEP_4)
	v_mul_f16_e64 v13, v10, v219
	v_fmac_f16_e32 v15, v10, v75
	v_lshrrev_b32_e32 v8, 16, v103
	v_mul_f16_e64 v10, v103, v208
	v_lshrrev_b32_e32 v17, 16, v106
	v_fma_f16 v13, v91, v75, -v13
	v_lshrrev_b32_e32 v20, 16, v117
	v_lshrrev_b32_e32 v90, 16, v164
	v_fmac_f16_e32 v10, v8, v74
	v_mul_f16_e64 v8, v8, v208
	v_lshlrev_b32_e32 v6, 2, v6
	s_delay_alu instid0(VALU_DEP_3) | instskip(NEXT) | instid1(VALU_DEP_3)
	v_add_f16_e32 v16, v12, v10
	v_fma_f16 v8, v103, v74, -v8
	v_mov_b32_e32 v103, v3
	s_delay_alu instid0(VALU_DEP_3) | instskip(NEXT) | instid1(VALU_DEP_3)
	v_add_f16_e32 v16, v16, v15
	v_add_f16_e32 v11, v102, v8
	s_delay_alu instid0(VALU_DEP_1) | instskip(NEXT) | instid1(VALU_DEP_1)
	v_add_f16_e32 v11, v11, v13
	v_pack_b32_f16 v11, v11, v16
	ds_store_2addr_b32 v171, v7, v11 offset0:6 offset1:249
	v_add_f16_e32 v7, v8, v13
	v_mul_f16_e64 v11, v107, v155
	s_delay_alu instid0(VALU_DEP_2) | instskip(SKIP_2) | instid1(VALU_DEP_2)
	v_fmac_f16_e32 v102, -0.5, v7
	v_add_f16_e32 v7, v10, v15
	v_sub_f16_e32 v10, v10, v15
	v_fmac_f16_e32 v12, -0.5, v7
	v_sub_f16_e32 v7, v8, v13
	s_delay_alu instid0(VALU_DEP_3) | instskip(SKIP_1) | instid1(VALU_DEP_3)
	v_fmamk_f16 v8, v10, 0x3aee, v102
	v_fmac_f16_e32 v102, 0xbaee, v10
	v_fmamk_f16 v10, v7, 0xbaee, v12
	v_fmac_f16_e32 v12, 0x3aee, v7
	s_delay_alu instid0(VALU_DEP_2) | instskip(NEXT) | instid1(VALU_DEP_2)
	v_pack_b32_f16 v8, v8, v10
	v_pack_b32_f16 v7, v102, v12
	v_mul_f16_e64 v10, v104, v217
	v_lshrrev_b32_e32 v12, 16, v105
	v_mov_b32_e32 v102, v2
	ds_store_2addr_b32 v157, v8, v7 offset0:12 offset1:255
	v_lshrrev_b32_e32 v7, 16, v104
	scratch_store_b32 off, v102, off offset:404 ; 4-byte Folded Spill
	v_mul_f16_e64 v8, v7, v217
	v_fmac_f16_e32 v10, v7, v76
	v_lshrrev_b32_e32 v7, 16, v107
	s_delay_alu instid0(VALU_DEP_3) | instskip(NEXT) | instid1(VALU_DEP_3)
	v_fma_f16 v8, v104, v76, -v8
	v_add_f16_e32 v13, v12, v10
	s_delay_alu instid0(VALU_DEP_3) | instskip(SKIP_2) | instid1(VALU_DEP_3)
	v_fmac_f16_e32 v11, v7, v77
	v_mul_f16_e64 v7, v7, v155
	v_mov_b32_e32 v104, v4
	v_add_f16_e32 v15, v10, v11
	v_sub_f16_e32 v10, v10, v11
	v_add_f16_e32 v11, v13, v11
	v_fma_f16 v7, v107, v77, -v7
	v_add_f16_e32 v13, v105, v8
	v_fmac_f16_e32 v12, -0.5, v15
	s_delay_alu instid0(VALU_DEP_3) | instskip(NEXT) | instid1(VALU_DEP_3)
	v_add_f16_e32 v15, v8, v7
	v_add_f16_e32 v13, v13, v7
	v_sub_f16_e32 v7, v8, v7
	s_delay_alu instid0(VALU_DEP_2) | instskip(NEXT) | instid1(VALU_DEP_4)
	v_pack_b32_f16 v8, v13, v11
	v_fma_f16 v11, -0.5, v15, v105
	s_delay_alu instid0(VALU_DEP_3) | instskip(SKIP_1) | instid1(VALU_DEP_3)
	v_fmamk_f16 v15, v7, 0xbaee, v12
	v_fmac_f16_e32 v12, 0x3aee, v7
	v_fmamk_f16 v13, v10, 0x3aee, v11
	v_fmac_f16_e32 v11, 0xbaee, v10
	s_delay_alu instid0(VALU_DEP_2)
	v_pack_b32_f16 v13, v13, v15
	v_add_nc_u32_e32 v15, 0x16c0, v0
	v_lshrrev_b32_e32 v0, 16, v108
	ds_store_2addr_b32 v15, v8, v13 offset0:2 offset1:245
	v_mul_f16_e64 v13, v108, v220
	scratch_store_b32 off, v15, off offset:376 ; 4-byte Folded Spill
	v_mul_f16_e64 v8, v0, v220
	v_mul_f16_e64 v15, v114, v222
	v_fmac_f16_e32 v13, v0, v79
	v_lshrrev_b32_e32 v0, 16, v114
	s_delay_alu instid0(VALU_DEP_4) | instskip(NEXT) | instid1(VALU_DEP_2)
	v_fma_f16 v8, v108, v79, -v8
	v_fmac_f16_e32 v15, v0, v78
	v_mul_f16_e64 v0, v0, v222
	s_delay_alu instid0(VALU_DEP_2) | instskip(NEXT) | instid1(VALU_DEP_2)
	v_add_f16_e32 v19, v15, v13
	v_fma_f16 v0, v114, v78, -v0
	s_delay_alu instid0(VALU_DEP_1) | instskip(SKIP_2) | instid1(VALU_DEP_3)
	v_add_f16_e32 v16, v0, v8
	v_add_f16_e32 v18, v106, v0
	v_sub_f16_e32 v0, v0, v8
	v_fmac_f16_e32 v106, -0.5, v16
	v_add_f16_e32 v16, v17, v15
	v_sub_f16_e32 v15, v15, v13
	v_fmac_f16_e32 v17, -0.5, v19
	s_delay_alu instid0(VALU_DEP_3) | instskip(SKIP_1) | instid1(VALU_DEP_1)
	v_add_f16_e32 v13, v16, v13
	v_add_f16_e32 v16, v18, v8
	v_pack_b32_f16 v8, v16, v13
	v_fmamk_f16 v13, v15, 0x3aee, v106
	v_fmamk_f16 v16, v0, 0xbaee, v17
	v_fmac_f16_e32 v106, 0xbaee, v15
	v_fmac_f16_e32 v17, 0x3aee, v0
	v_mul_f16_e64 v15, v153, v226
	s_delay_alu instid0(VALU_DEP_4)
	v_pack_b32_f16 v13, v13, v16
	v_add_nc_u32_e32 v16, 0x2200, v1
	v_lshrrev_b32_e32 v1, 16, v115
	v_pack_b32_f16 v0, v106, v17
	ds_store_2addr_b32 v16, v8, v13 offset0:11 offset1:254
	v_mul_f16_e64 v13, v115, v224
	scratch_store_b32 off, v16, off offset:356 ; 4-byte Folded Spill
	v_mul_f16_e64 v8, v1, v224
	v_lshrrev_b32_e32 v16, 16, v116
	v_fmac_f16_e32 v13, v1, v80
	v_lshrrev_b32_e32 v1, 16, v153
	s_delay_alu instid0(VALU_DEP_4) | instskip(NEXT) | instid1(VALU_DEP_3)
	v_fma_f16 v8, v115, v80, -v8
	v_add_f16_e32 v17, v16, v13
	s_delay_alu instid0(VALU_DEP_3) | instskip(SKIP_1) | instid1(VALU_DEP_2)
	v_fmac_f16_e32 v15, v1, v81
	v_mul_f16_e64 v1, v1, v226
	v_add_f16_e32 v18, v13, v15
	v_sub_f16_e32 v13, v13, v15
	v_add_f16_e32 v15, v17, v15
	s_delay_alu instid0(VALU_DEP_4) | instskip(SKIP_2) | instid1(VALU_DEP_3)
	v_fma_f16 v1, v153, v81, -v1
	v_add_f16_e32 v17, v116, v8
	v_fmac_f16_e32 v16, -0.5, v18
	v_add_f16_e32 v18, v8, v1
	s_delay_alu instid0(VALU_DEP_3) | instskip(SKIP_1) | instid1(VALU_DEP_2)
	v_add_f16_e32 v17, v17, v1
	v_sub_f16_e32 v1, v8, v1
	v_pack_b32_f16 v8, v17, v15
	s_delay_alu instid0(VALU_DEP_4) | instskip(NEXT) | instid1(VALU_DEP_3)
	v_fma_f16 v15, -0.5, v18, v116
	v_fmamk_f16 v18, v1, 0xbaee, v16
	v_fmac_f16_e32 v16, 0x3aee, v1
	v_pack_b32_f16 v1, v11, v12
	s_delay_alu instid0(VALU_DEP_4) | instskip(SKIP_1) | instid1(VALU_DEP_2)
	v_fmamk_f16 v17, v13, 0x3aee, v15
	v_fmac_f16_e32 v15, 0xbaee, v13
	v_pack_b32_f16 v17, v17, v18
	v_add_nc_u32_e32 v18, 0x2d80, v2
	v_lshrrev_b32_e32 v2, 16, v154
	scratch_store_b32 off, v18, off offset:360 ; 4-byte Folded Spill
	ds_store_2addr_b32 v18, v8, v17 offset0:4 offset1:247
	v_lshrrev_b32_e32 v230, 16, v87
	v_lshrrev_b32_e32 v232, 16, v86
	;; [unrolled: 1-line block ×5, first 2 shown]
	v_mul_f16_e64 v17, v154, v230
	v_mul_f16_e64 v8, v2, v230
	;; [unrolled: 1-line block ×3, first 2 shown]
	v_lshrrev_b32_e32 v236, 16, v96
	v_lshrrev_b32_e32 v238, 16, v100
	v_fmac_f16_e32 v17, v2, v87
	v_lshrrev_b32_e32 v2, 16, v161
	v_fma_f16 v8, v154, v87, -v8
	v_lshrrev_b32_e32 v237, 16, v101
	s_delay_alu instid0(VALU_DEP_3) | instskip(SKIP_1) | instid1(VALU_DEP_2)
	v_fmac_f16_e32 v18, v2, v86
	v_mul_f16_e64 v2, v2, v232
	v_add_f16_e32 v85, v18, v17
	s_delay_alu instid0(VALU_DEP_2) | instskip(NEXT) | instid1(VALU_DEP_1)
	v_fma_f16 v2, v161, v86, -v2
	v_add_f16_e32 v19, v2, v8
	v_add_f16_e32 v21, v117, v2
	v_sub_f16_e32 v2, v2, v8
	s_delay_alu instid0(VALU_DEP_3) | instskip(SKIP_3) | instid1(VALU_DEP_3)
	v_fmac_f16_e32 v117, -0.5, v19
	v_add_f16_e32 v19, v20, v18
	v_sub_f16_e32 v18, v18, v17
	v_fmac_f16_e32 v20, -0.5, v85
	v_add_f16_e32 v17, v19, v17
	v_add_f16_e32 v19, v21, v8
	s_delay_alu instid0(VALU_DEP_1)
	v_pack_b32_f16 v8, v19, v17
	v_fmamk_f16 v17, v18, 0x3aee, v117
	v_fmamk_f16 v19, v2, 0xbaee, v20
	v_fmac_f16_e32 v117, 0xbaee, v18
	v_fmac_f16_e32 v20, 0x3aee, v2
	v_mul_f16_e64 v18, v205, v234
	s_delay_alu instid0(VALU_DEP_4)
	v_pack_b32_f16 v17, v17, v19
	v_add_nc_u32_e32 v19, 0x38e0, v3
	v_lshrrev_b32_e32 v3, 16, v162
	v_pack_b32_f16 v2, v117, v20
	scratch_store_b32 off, v19, off offset:364 ; 4-byte Folded Spill
	ds_store_2addr_b32 v19, v8, v17 offset0:5 offset1:248
	v_mul_f16_e64 v17, v162, v233
	v_mul_f16_e64 v8, v3, v233
	v_lshrrev_b32_e32 v19, 16, v163
	s_delay_alu instid0(VALU_DEP_3) | instskip(SKIP_1) | instid1(VALU_DEP_4)
	v_fmac_f16_e32 v17, v3, v92
	v_lshrrev_b32_e32 v3, 16, v205
	v_fma_f16 v8, v162, v92, -v8
	s_delay_alu instid0(VALU_DEP_3) | instskip(NEXT) | instid1(VALU_DEP_3)
	v_add_f16_e32 v20, v19, v17
	v_fmac_f16_e32 v18, v3, v93
	v_mul_f16_e64 v3, v3, v234
	s_delay_alu instid0(VALU_DEP_2) | instskip(SKIP_2) | instid1(VALU_DEP_4)
	v_add_f16_e32 v21, v17, v18
	v_sub_f16_e32 v17, v17, v18
	v_add_f16_e32 v18, v20, v18
	v_fma_f16 v3, v205, v93, -v3
	v_add_f16_e64 v20, v163, v8
	v_fmac_f16_e32 v19, -0.5, v21
	s_delay_alu instid0(VALU_DEP_3) | instskip(NEXT) | instid1(VALU_DEP_3)
	v_add_f16_e32 v21, v8, v3
	v_add_f16_e32 v20, v20, v3
	v_sub_f16_e32 v3, v8, v3
	s_delay_alu instid0(VALU_DEP_2) | instskip(NEXT) | instid1(VALU_DEP_4)
	v_pack_b32_f16 v8, v20, v18
	v_fma_f16 v18, -0.5, v21, v163
	s_delay_alu instid0(VALU_DEP_3) | instskip(SKIP_2) | instid1(VALU_DEP_4)
	v_fmamk_f16 v21, v3, 0xbaee, v19
	v_fmac_f16_e32 v19, 0x3aee, v3
	v_pack_b32_f16 v3, v15, v16
	v_fmamk_f16 v20, v17, 0x3aee, v18
	v_fmac_f16_e32 v18, 0xbaee, v17
	s_delay_alu instid0(VALU_DEP_2)
	v_pack_b32_f16 v20, v20, v21
	v_add_nc_u32_e32 v21, 0x4440, v4
	v_lshrrev_b32_e32 v4, 16, v206
	scratch_store_b32 off, v21, off offset:368 ; 4-byte Folded Spill
	ds_store_2addr_b32 v21, v8, v20 offset0:6 offset1:249
	v_mul_f16_e64 v20, v206, v235
	v_mul_f16_e64 v8, v4, v235
	;; [unrolled: 1-line block ×3, first 2 shown]
	s_delay_alu instid0(VALU_DEP_3) | instskip(SKIP_1) | instid1(VALU_DEP_4)
	v_fmac_f16_e32 v20, v4, v97
	v_lshrrev_b32_e32 v4, 16, v213
	v_fma_f16 v8, v206, v97, -v8
	s_delay_alu instid0(VALU_DEP_2) | instskip(SKIP_1) | instid1(VALU_DEP_2)
	v_fmac_f16_e32 v21, v4, v96
	v_mul_f16_e64 v4, v4, v236
	v_add_f16_e32 v99, v21, v20
	s_delay_alu instid0(VALU_DEP_2) | instskip(NEXT) | instid1(VALU_DEP_1)
	v_fma_f16 v4, v213, v96, -v4
	v_add_f16_e32 v85, v4, v8
	v_add_f16_e64 v91, v164, v4
	v_sub_f16_e32 v4, v4, v8
	s_delay_alu instid0(VALU_DEP_3)
	v_fmac_f16_e64 v164, -0.5, v85
	v_add_f16_e32 v85, v90, v21
	v_sub_f16_e32 v21, v21, v20
	v_fmac_f16_e32 v90, -0.5, v99
	v_mov_b32_e32 v99, v5
	scratch_store_b32 off, v104, off offset:388 ; 4-byte Folded Spill
	v_add_f16_e32 v20, v85, v20
	v_add_f16_e32 v85, v91, v8
	s_delay_alu instid0(VALU_DEP_1) | instskip(SKIP_4) | instid1(VALU_DEP_3)
	v_pack_b32_f16 v8, v85, v20
	v_fma_f16 v20, 0x3aee, v21, v164
	v_fmamk_f16 v85, v4, 0xbaee, v90
	v_fmac_f16_e64 v164, 0xbaee, v21
	v_fmac_f16_e32 v90, 0x3aee, v4
	v_pack_b32_f16 v20, v20, v85
	v_add_nc_u32_e32 v85, 0x4fa0, v5
	v_lshrrev_b32_e32 v5, 16, v214
	s_delay_alu instid0(VALU_DEP_4)
	v_pack_b32_f16 v4, v164, v90
	ds_store_2addr_b32 v85, v8, v20 offset0:7 offset1:250
	v_mul_f16_e64 v20, v214, v238
	v_mul_f16_e64 v8, v5, v238
	scratch_store_b32 off, v85, off offset:372 ; 4-byte Folded Spill
	v_lshrrev_b32_e32 v85, 16, v84
	v_fmac_f16_e32 v20, v5, v100
	v_lshrrev_b32_e32 v5, 16, v14
	v_fma_f16 v8, v214, v100, -v8
	s_delay_alu instid0(VALU_DEP_2) | instskip(NEXT) | instid1(VALU_DEP_2)
	v_mul_f16_e64 v21, v5, v237
	v_add_f16_e32 v90, v84, v8
	s_delay_alu instid0(VALU_DEP_2) | instskip(SKIP_1) | instid1(VALU_DEP_1)
	v_fma_f16 v21, v14, v101, -v21
	v_mul_f16_e64 v14, v14, v237
	v_fmac_f16_e32 v14, v5, v101
	s_delay_alu instid0(VALU_DEP_3) | instskip(SKIP_1) | instid1(VALU_DEP_3)
	v_add_f16_e32 v5, v8, v21
	v_sub_f16_e32 v8, v8, v21
	v_add_f16_e32 v91, v20, v14
	s_delay_alu instid0(VALU_DEP_3) | instskip(SKIP_2) | instid1(VALU_DEP_4)
	v_fmac_f16_e32 v84, -0.5, v5
	v_add_f16_e32 v5, v85, v20
	v_sub_f16_e32 v20, v20, v14
	v_fmac_f16_e32 v85, -0.5, v91
	s_delay_alu instid0(VALU_DEP_3) | instskip(SKIP_2) | instid1(VALU_DEP_4)
	v_add_f16_e32 v5, v5, v14
	v_add_f16_e32 v14, v90, v21
	v_add_nc_u32_e32 v90, 0x5b00, v6
	v_fmamk_f16 v21, v8, 0xbaee, v85
	v_fmac_f16_e32 v85, 0x3aee, v8
	scratch_store_b32 off, v103, off offset:384 ; 4-byte Folded Spill
	v_pack_b32_f16 v5, v14, v5
	v_fmamk_f16 v14, v20, 0x3aee, v84
	v_fmac_f16_e32 v84, 0xbaee, v20
	scratch_store_b32 off, v90, off offset:380 ; 4-byte Folded Spill
	v_pack_b32_f16 v14, v14, v21
	v_mov_b32_e32 v21, v6
	v_pack_b32_f16 v6, v18, v19
	s_clause 0x3
	scratch_store_b32 off, v99, off offset:392
	scratch_store_b32 off, v23, off offset:400
	;; [unrolled: 1-line block ×4, first 2 shown]
	ds_store_2addr_b32 v90, v5, v14 offset0:8 offset1:251
	v_pack_b32_f16 v5, v84, v85
	ds_store_b32 v22, v1 offset:7776
	ds_store_b32 v23, v0 offset:10692
	;; [unrolled: 1-line block ×7, first 2 shown]
	v_lshlrev_b32_e32 v99, 3, v83
	v_lshlrev_b32_e32 v102, 3, v82
	global_wb scope:SCOPE_SE
	s_wait_storecnt_dscnt 0x0
	s_barrier_signal -1
	s_barrier_wait -1
	global_inv scope:SCOPE_SE
	ds_load_2addr_b32 v[103:104], v185 offset0:6 offset1:249
	s_clause 0x2
	global_load_b64 v[82:83], v98, s[6:7] offset:2904
	global_load_b64 v[84:85], v99, s[6:7] offset:2904
	;; [unrolled: 1-line block ×3, first 2 shown]
	v_mul_u32_u24_e32 v6, 0x6799, v95
	ds_load_2addr_b32 v[114:115], v120 offset1:243
	ds_load_2addr_b32 v[116:117], v176 offset0:6 offset1:249
	v_mov_b32_e32 v22, v165
	v_lshrrev_b32_e32 v6, 16, v6
	s_delay_alu instid0(VALU_DEP_1) | instskip(NEXT) | instid1(VALU_DEP_1)
	v_sub_nc_u16 v7, v112, v6
	v_lshrrev_b16 v7, 1, v7
	s_wait_dscnt 0x2
	v_lshrrev_b32_e32 v0, 16, v103
	v_lshrrev_b32_e32 v2, 16, v104
	s_delay_alu instid0(VALU_DEP_3) | instskip(SKIP_2) | instid1(VALU_DEP_2)
	v_add_nc_u16 v6, v7, v6
	s_wait_dscnt 0x1
	v_lshrrev_b32_e32 v8, 16, v114
	v_lshrrev_b16 v6, 9, v6
	s_delay_alu instid0(VALU_DEP_1) | instskip(NEXT) | instid1(VALU_DEP_1)
	v_mul_lo_u16 v6, 0x2d9, v6
	v_sub_nc_u16 v6, v112, v6
	s_wait_loadcnt 0x2
	v_lshrrev_b32_e32 v215, 16, v83
	s_wait_loadcnt 0x1
	v_lshrrev_b32_e32 v214, 16, v85
	v_lshrrev_b32_e32 v213, 16, v82
	;; [unrolled: 1-line block ×3, first 2 shown]
	s_wait_loadcnt 0x0
	v_lshrrev_b32_e32 v228, 16, v90
	v_mul_f16_e64 v4, v103, v215
	v_mul_f16_e64 v1, v0, v215
	;; [unrolled: 1-line block ×4, first 2 shown]
	v_lshrrev_b32_e32 v227, 16, v91
	v_fmac_f16_e32 v4, v0, v83
	v_mul_u32_u24_e32 v0, 0x6799, v94
	ds_load_2addr_b32 v[94:95], v186 offset0:8 offset1:251
	v_fmac_f16_e32 v5, v2, v85
	v_fma_f16 v1, v103, v83, -v1
	v_fma_f16 v3, v104, v85, -v3
	v_lshrrev_b32_e32 v0, 16, v0
	s_delay_alu instid0(VALU_DEP_1) | instskip(NEXT) | instid1(VALU_DEP_1)
	v_sub_nc_u16 v2, v110, v0
	v_lshrrev_b16 v2, 1, v2
	s_delay_alu instid0(VALU_DEP_1) | instskip(SKIP_3) | instid1(VALU_DEP_3)
	v_add_nc_u16 v0, v2, v0
	s_wait_dscnt 0x0
	v_lshrrev_b32_e32 v2, 16, v95
	v_mul_f16_e64 v7, v95, v213
	v_lshrrev_b16 v0, 9, v0
	s_delay_alu instid0(VALU_DEP_2) | instskip(SKIP_1) | instid1(VALU_DEP_3)
	v_fmac_f16_e32 v7, v2, v82
	v_mul_f16_e64 v2, v2, v213
	v_mul_lo_u16 v0, 0x2d9, v0
	s_delay_alu instid0(VALU_DEP_3) | instskip(NEXT) | instid1(VALU_DEP_3)
	v_add_f16_e32 v10, v7, v4
	v_fma_f16 v2, v95, v82, -v2
	v_add_f16_e32 v11, v8, v7
	v_sub_f16_e32 v7, v7, v4
	v_sub_nc_u16 v0, v110, v0
	v_fmac_f16_e32 v8, -0.5, v10
	v_add_f16_e32 v10, v114, v2
	v_add_f16_e32 v12, v2, v1
	;; [unrolled: 1-line block ×3, first 2 shown]
	s_delay_alu instid0(VALU_DEP_3) | instskip(SKIP_1) | instid1(VALU_DEP_4)
	v_add_f16_e32 v10, v10, v1
	v_sub_f16_e32 v1, v2, v1
	v_fma_f16 v2, -0.5, v12, v114
	s_delay_alu instid0(VALU_DEP_3) | instskip(SKIP_1) | instid1(VALU_DEP_3)
	v_pack_b32_f16 v4, v10, v4
	v_mul_f16_e64 v10, v116, v218
	v_fmamk_f16 v12, v7, 0x3aee, v2
	v_fmac_f16_e32 v2, 0xbaee, v7
	v_fmamk_f16 v7, v1, 0xbaee, v8
	v_fmac_f16_e32 v8, 0x3aee, v1
	v_mul_u32_u24_e32 v1, 0x6799, v89
	s_delay_alu instid0(VALU_DEP_3) | instskip(NEXT) | instid1(VALU_DEP_3)
	v_pack_b32_f16 v7, v12, v7
	v_pack_b32_f16 v2, v2, v8
	s_delay_alu instid0(VALU_DEP_3) | instskip(SKIP_2) | instid1(VALU_DEP_3)
	v_lshrrev_b32_e32 v1, 16, v1
	v_lshrrev_b32_e32 v8, 16, v116
	;; [unrolled: 1-line block ×3, first 2 shown]
	v_sub_nc_u16 v11, v9, v1
	s_delay_alu instid0(VALU_DEP_3) | instskip(SKIP_1) | instid1(VALU_DEP_3)
	v_fmac_f16_e32 v10, v8, v84
	v_mul_f16_e64 v8, v8, v218
	v_lshrrev_b16 v11, 1, v11
	s_delay_alu instid0(VALU_DEP_3) | instskip(NEXT) | instid1(VALU_DEP_3)
	v_add_f16_e32 v13, v12, v10
	v_fma_f16 v8, v116, v84, -v8
	s_delay_alu instid0(VALU_DEP_3) | instskip(NEXT) | instid1(VALU_DEP_3)
	v_add_nc_u16 v1, v11, v1
	v_add_f16_e32 v13, v13, v5
	s_delay_alu instid0(VALU_DEP_3) | instskip(NEXT) | instid1(VALU_DEP_3)
	v_add_f16_e32 v11, v115, v8
	v_lshrrev_b16 v1, 9, v1
	s_delay_alu instid0(VALU_DEP_2) | instskip(NEXT) | instid1(VALU_DEP_2)
	v_add_f16_e32 v11, v11, v3
	v_mul_lo_u16 v1, 0x2d9, v1
	s_delay_alu instid0(VALU_DEP_2) | instskip(SKIP_2) | instid1(VALU_DEP_4)
	v_pack_b32_f16 v11, v11, v13
	v_lshlrev_b16 v13, 3, v6
	v_and_b32_e32 v6, 0xffff, v6
	v_sub_nc_u16 v1, v9, v1
	s_delay_alu instid0(VALU_DEP_3) | instskip(NEXT) | instid1(VALU_DEP_3)
	v_and_b32_e32 v13, 0xffff, v13
	v_lshlrev_b32_e32 v209, 2, v6
	s_delay_alu instid0(VALU_DEP_3) | instskip(SKIP_1) | instid1(VALU_DEP_4)
	v_lshlrev_b16 v14, 3, v1
	v_and_b32_e32 v1, 0xffff, v1
	v_add_co_u32 v103, s2, s6, v13
	v_lshlrev_b16 v13, 3, v0
	s_delay_alu instid0(VALU_DEP_4) | instskip(SKIP_4) | instid1(VALU_DEP_1)
	v_and_b32_e32 v14, 0xffff, v14
	s_wait_alu 0xf1ff
	v_add_co_ci_u32_e64 v104, null, s7, 0, s2
	v_and_b32_e32 v0, 0xffff, v0
	v_and_b32_e32 v13, 0xffff, v13
	v_add_co_u32 v106, s2, s6, v13
	s_wait_alu 0xf1ff
	v_add_co_ci_u32_e64 v107, null, s7, 0, s2
	v_add_co_u32 v108, s2, s6, v14
	s_wait_alu 0xf1ff
	v_add_co_ci_u32_e64 v109, null, s7, 0, s2
	s_clause 0x2
	global_load_b64 v[104:105], v[103:104], off offset:2904
	global_load_b64 v[106:107], v[106:107], off offset:2904
	;; [unrolled: 1-line block ×3, first 2 shown]
	ds_load_b32 v13, v120 offset:25272
	ds_load_2addr_b32 v[153:154], v171 offset0:6 offset1:249
	ds_load_2addr_b32 v[161:162], v179 offset0:12 offset1:255
	;; [unrolled: 1-line block ×8, first 2 shown]
	ds_load_2addr_b32 v[247:248], v139 offset1:243
	global_wb scope:SCOPE_SE
	s_wait_loadcnt_dscnt 0x0
	s_barrier_signal -1
	s_barrier_wait -1
	global_inv scope:SCOPE_SE
	ds_store_b32 v120, v7 offset:2916
	ds_store_b32 v120, v2 offset:5832
	ds_store_2addr_b32 v120, v4, v11 offset1:243
	v_add_f16_e32 v2, v8, v3
	v_sub_f16_e32 v4, v10, v5
	s_add_nc_u64 s[2:3], s[4:5], 0x6684
	s_delay_alu instid0(VALU_DEP_2) | instskip(SKIP_4) | instid1(VALU_DEP_4)
	v_fmac_f16_e32 v115, -0.5, v2
	v_add_f16_e32 v2, v10, v5
	v_lshrrev_b32_e32 v5, 16, v117
	v_mul_f16_e64 v10, v161, v227
	v_lshrrev_b32_e32 v11, 16, v153
	v_fmac_f16_e32 v12, -0.5, v2
	v_sub_f16_e32 v2, v8, v3
	v_mul_f16_e64 v8, v117, v228
	v_mul_f16_e64 v7, v5, v228
	v_fmamk_f16 v3, v4, 0x3aee, v115
	v_fmac_f16_e32 v115, 0xbaee, v4
	v_fmamk_f16 v4, v2, 0xbaee, v12
	v_fmac_f16_e32 v8, v5, v90
	v_lshrrev_b32_e32 v5, 16, v161
	v_fmac_f16_e32 v12, 0x3aee, v2
	v_fma_f16 v7, v117, v90, -v7
	v_pack_b32_f16 v3, v3, v4
	v_lshrrev_b32_e32 v19, 16, v246
	v_fmac_f16_e32 v10, v5, v91
	v_mul_f16_e64 v5, v5, v227
	v_pack_b32_f16 v2, v115, v12
	v_add_f16_e32 v12, v11, v8
	s_delay_alu instid0(VALU_DEP_4) | instskip(NEXT) | instid1(VALU_DEP_4)
	v_add_f16_e32 v14, v8, v10
	v_fma_f16 v5, v161, v91, -v5
	v_sub_f16_e32 v8, v8, v10
	s_delay_alu instid0(VALU_DEP_4) | instskip(SKIP_3) | instid1(VALU_DEP_3)
	v_add_f16_e32 v10, v12, v10
	v_add_f16_e64 v12, v153, v7
	v_fmac_f16_e32 v11, -0.5, v14
	v_add_f16_e32 v14, v7, v5
	v_add_f16_e32 v12, v12, v5
	v_sub_f16_e32 v5, v7, v5
	s_delay_alu instid0(VALU_DEP_3) | instskip(NEXT) | instid1(VALU_DEP_3)
	v_fma_f16 v7, -0.5, v14, v153
	v_pack_b32_f16 v4, v12, v10
	s_delay_alu instid0(VALU_DEP_3) | instskip(NEXT) | instid1(VALU_DEP_3)
	v_fmamk_f16 v12, v5, 0xbaee, v11
	v_fmamk_f16 v10, v8, 0x3aee, v7
	v_fmac_f16_e32 v7, 0xbaee, v8
	v_fmac_f16_e32 v11, 0x3aee, v5
	v_lshrrev_b32_e32 v5, 16, v163
	s_delay_alu instid0(VALU_DEP_4)
	v_pack_b32_f16 v10, v10, v12
	ds_store_b32 v120, v2 offset:6804
	ds_store_b32 v120, v4 offset:1944
	ds_store_2addr_b32 v157, v3, v10 offset0:12 offset1:255
	v_lshrrev_b32_e32 v2, 16, v162
	v_mul_f16_e64 v4, v162, v215
	v_lshrrev_b32_e32 v10, 16, v154
	s_delay_alu instid0(VALU_DEP_3) | instskip(NEXT) | instid1(VALU_DEP_3)
	v_mul_f16_e64 v3, v2, v215
	v_fmac_f16_e32 v4, v2, v83
	v_pack_b32_f16 v2, v7, v11
	v_mul_f16_e64 v7, v163, v213
	s_delay_alu instid0(VALU_DEP_4) | instskip(NEXT) | instid1(VALU_DEP_2)
	v_fma_f16 v3, v162, v83, -v3
	v_fmac_f16_e32 v7, v5, v82
	v_mul_f16_e64 v5, v5, v213
	s_delay_alu instid0(VALU_DEP_2) | instskip(NEXT) | instid1(VALU_DEP_2)
	v_add_f16_e32 v11, v10, v7
	v_fma_f16 v5, v163, v82, -v5
	s_delay_alu instid0(VALU_DEP_2) | instskip(NEXT) | instid1(VALU_DEP_2)
	v_add_f16_e32 v11, v11, v4
	v_add_f16_e64 v8, v154, v5
	s_delay_alu instid0(VALU_DEP_1) | instskip(NEXT) | instid1(VALU_DEP_1)
	v_add_f16_e32 v8, v8, v3
	v_pack_b32_f16 v8, v8, v11
	v_lshrrev_b32_e32 v11, 16, v205
	ds_store_2addr_b32 v186, v2, v8 offset0:8 offset1:251
	v_add_f16_e32 v2, v5, v3
	v_mul_f16_e64 v8, v164, v218
	s_delay_alu instid0(VALU_DEP_2) | instskip(SKIP_2) | instid1(VALU_DEP_2)
	v_fmac_f16_e64 v154, -0.5, v2
	v_add_f16_e32 v2, v7, v4
	v_sub_f16_e32 v4, v7, v4
	v_fmac_f16_e32 v10, -0.5, v2
	v_sub_f16_e32 v2, v5, v3
	v_lshrrev_b32_e32 v5, 16, v164
	s_delay_alu instid0(VALU_DEP_4) | instskip(SKIP_1) | instid1(VALU_DEP_4)
	v_fma_f16 v3, 0x3aee, v4, v154
	v_fmac_f16_e64 v154, 0xbaee, v4
	v_fmamk_f16 v4, v2, 0xbaee, v10
	v_fmac_f16_e32 v10, 0x3aee, v2
	v_mul_f16_e64 v7, v5, v218
	v_fmac_f16_e32 v8, v5, v84
	v_lshrrev_b32_e32 v5, 16, v239
	v_pack_b32_f16 v3, v3, v4
	v_pack_b32_f16 v2, v154, v10
	v_mul_f16_e64 v10, v239, v214
	v_fma_f16 v7, v164, v84, -v7
	v_mul_f16_e64 v4, v5, v214
	v_add_f16_e32 v14, v11, v8
	s_delay_alu instid0(VALU_DEP_4) | instskip(NEXT) | instid1(VALU_DEP_3)
	v_fmac_f16_e32 v10, v5, v85
	v_fma_f16 v4, v239, v85, -v4
	s_delay_alu instid0(VALU_DEP_2) | instskip(SKIP_1) | instid1(VALU_DEP_3)
	v_add_f16_e32 v12, v8, v10
	v_sub_f16_e32 v8, v8, v10
	v_add_f16_e32 v5, v7, v4
	s_delay_alu instid0(VALU_DEP_3) | instskip(SKIP_1) | instid1(VALU_DEP_3)
	v_fmac_f16_e32 v11, -0.5, v12
	v_sub_f16_e32 v12, v7, v4
	v_fma_f16 v5, -0.5, v5, v205
	v_add_f16_e64 v7, v205, v7
	v_lshlrev_b32_e32 v205, 2, v0
	s_delay_alu instid0(VALU_DEP_4) | instskip(NEXT) | instid1(VALU_DEP_4)
	v_fmamk_f16 v16, v12, 0xbaee, v11
	v_fmamk_f16 v15, v8, 0x3aee, v5
	s_delay_alu instid0(VALU_DEP_4)
	v_add_f16_e32 v4, v7, v4
	v_add_f16_e32 v7, v14, v10
	v_lshrrev_b32_e32 v14, 16, v206
	v_fmac_f16_e32 v5, 0xbaee, v8
	v_pack_b32_f16 v15, v15, v16
	v_mul_f16_e64 v16, v240, v227
	v_fmac_f16_e32 v11, 0x3aee, v12
	v_lshrrev_b32_e32 v8, 16, v94
	ds_store_2addr_b32 v160, v3, v15 offset0:4 offset1:247
	v_lshrrev_b32_e32 v3, 16, v240
	s_delay_alu instid0(VALU_DEP_1)
	v_mul_f16_e64 v15, v3, v227
	v_fmac_f16_e32 v16, v3, v91
	v_pack_b32_f16 v3, v4, v7
	v_lshrrev_b32_e32 v4, 16, v241
	v_mul_f16_e64 v7, v241, v228
	v_fma_f16 v15, v240, v91, -v15
	s_delay_alu instid0(VALU_DEP_2) | instskip(SKIP_1) | instid1(VALU_DEP_2)
	v_fmac_f16_e32 v7, v4, v90
	v_mul_f16_e64 v4, v4, v228
	v_add_f16_e32 v17, v14, v7
	s_delay_alu instid0(VALU_DEP_2) | instskip(NEXT) | instid1(VALU_DEP_2)
	v_fma_f16 v4, v241, v90, -v4
	v_add_f16_e32 v17, v17, v16
	s_delay_alu instid0(VALU_DEP_2) | instskip(NEXT) | instid1(VALU_DEP_1)
	v_add_f16_e64 v10, v206, v4
	v_add_f16_e32 v10, v10, v15
	s_delay_alu instid0(VALU_DEP_1) | instskip(SKIP_3) | instid1(VALU_DEP_1)
	v_pack_b32_f16 v10, v10, v17
	v_lshrrev_b32_e32 v17, 16, v245
	ds_store_2addr_b32 v176, v3, v10 offset0:6 offset1:249
	v_add_f16_e32 v3, v4, v15
	v_fmac_f16_e64 v206, -0.5, v3
	v_add_f16_e32 v3, v7, v16
	v_sub_f16_e32 v7, v7, v16
	s_delay_alu instid0(VALU_DEP_2) | instskip(SKIP_1) | instid1(VALU_DEP_3)
	v_fmac_f16_e32 v14, -0.5, v3
	v_sub_f16_e32 v3, v4, v15
	v_fma_f16 v4, 0x3aee, v7, v206
	v_fmac_f16_e64 v206, 0xbaee, v7
	s_delay_alu instid0(VALU_DEP_3) | instskip(SKIP_2) | instid1(VALU_DEP_3)
	v_fmamk_f16 v10, v3, 0xbaee, v14
	v_fmac_f16_e32 v14, 0x3aee, v3
	v_pack_b32_f16 v3, v5, v11
	v_pack_b32_f16 v4, v4, v10
	ds_store_2addr_b32 v147, v4, v2 offset0:10 offset1:253
	v_pack_b32_f16 v2, v206, v14
	v_lshrrev_b32_e32 v14, 16, v247
	v_lshlrev_b32_e32 v206, 2, v1
	ds_store_2addr_b32 v139, v3, v2 offset1:243
	v_lshrrev_b32_e32 v2, 16, v13
	v_lshrrev_b32_e32 v241, 16, v104
	;; [unrolled: 1-line block ×6, first 2 shown]
	s_delay_alu instid0(VALU_DEP_4) | instskip(NEXT) | instid1(VALU_DEP_4)
	v_mul_f16_e64 v15, v14, v163
	v_mul_f16_e64 v4, v13, v162
	;; [unrolled: 1-line block ×5, first 2 shown]
	v_fma_f16 v15, v247, v106, -v15
	v_fmac_f16_e32 v4, v2, v109
	v_lshrrev_b32_e32 v2, 16, v248
	v_fma_f16 v3, v13, v109, -v3
	v_mul_f16_e64 v13, v242, v241
	v_mul_f16_e64 v16, v247, v163
	v_fma_f16 v20, v246, v107, -v20
	v_fmac_f16_e32 v5, v2, v108
	v_mul_f16_e64 v2, v2, v240
	v_mul_f16_e64 v89, v246, v164
	v_fmac_f16_e32 v16, v14, v106
	v_lshrrev_b32_e32 v14, 16, v244
	s_delay_alu instid0(VALU_DEP_4) | instskip(NEXT) | instid1(VALU_DEP_4)
	v_fma_f16 v2, v248, v108, -v2
	v_fmac_f16_e32 v89, v19, v107
	s_delay_alu instid0(VALU_DEP_2) | instskip(SKIP_2) | instid1(VALU_DEP_3)
	v_add_f16_e32 v7, v2, v3
	v_add_f16_e32 v10, v94, v2
	v_sub_f16_e32 v2, v2, v3
	v_fmac_f16_e32 v94, -0.5, v7
	v_sub_f16_e32 v7, v5, v4
	s_delay_alu instid0(VALU_DEP_4) | instskip(NEXT) | instid1(VALU_DEP_2)
	v_add_f16_e32 v3, v10, v3
	v_fmamk_f16 v11, v7, 0x3aee, v94
	v_fmac_f16_e32 v94, 0xbaee, v7
	v_add_f16_e32 v7, v5, v4
	v_add_f16_e32 v5, v8, v5
	s_delay_alu instid0(VALU_DEP_2) | instskip(NEXT) | instid1(VALU_DEP_2)
	v_fmac_f16_e32 v8, -0.5, v7
	v_add_f16_e32 v4, v5, v4
	s_delay_alu instid0(VALU_DEP_2) | instskip(SKIP_1) | instid1(VALU_DEP_3)
	v_fmamk_f16 v7, v2, 0xbaee, v8
	v_fmac_f16_e32 v8, 0x3aee, v2
	v_pack_b32_f16 v0, v3, v4
	s_delay_alu instid0(VALU_DEP_3) | instskip(NEXT) | instid1(VALU_DEP_3)
	v_pack_b32_f16 v3, v11, v7
	v_pack_b32_f16 v2, v94, v8
	v_lshrrev_b32_e32 v8, 16, v242
	v_lshrrev_b32_e32 v94, 16, v243
	s_delay_alu instid0(VALU_DEP_2) | instskip(SKIP_2) | instid1(VALU_DEP_3)
	v_mul_f16_e64 v12, v8, v241
	v_fmac_f16_e32 v13, v8, v104
	v_add_f16_e32 v8, v15, v20
	v_fma_f16 v12, v242, v104, -v12
	v_lshrrev_b32_e32 v242, 16, v105
	s_delay_alu instid0(VALU_DEP_4) | instskip(NEXT) | instid1(VALU_DEP_3)
	v_add_f16_e32 v114, v94, v13
	v_add_f16_e64 v95, v243, v12
	s_delay_alu instid0(VALU_DEP_3) | instskip(SKIP_1) | instid1(VALU_DEP_2)
	v_mul_f16_e64 v21, v245, v242
	v_mul_f16_e64 v18, v17, v242
	v_fmac_f16_e32 v21, v17, v105
	v_add_f16_e64 v17, v244, v15
	v_fmac_f16_e64 v244, -0.5, v8
	v_sub_f16_e32 v8, v16, v89
	v_fma_f16 v18, v245, v105, -v18
	v_add_f16_e32 v103, v13, v21
	v_sub_f16_e32 v13, v13, v21
	s_delay_alu instid0(VALU_DEP_4)
	v_fma_f16 v19, 0x3aee, v8, v244
	v_fmac_f16_e64 v244, 0xbaee, v8
	v_add_f16_e32 v8, v16, v89
	v_add_f16_e32 v16, v14, v16
	v_fmac_f16_e32 v94, -0.5, v103
	v_add_f16_e32 v95, v95, v18
	s_delay_alu instid0(VALU_DEP_4) | instskip(SKIP_2) | instid1(VALU_DEP_2)
	v_fmac_f16_e32 v14, -0.5, v8
	v_sub_f16_e32 v8, v15, v20
	v_add_f16_e32 v16, v16, v89
	v_fmamk_f16 v15, v8, 0xbaee, v14
	v_fmac_f16_e32 v14, 0x3aee, v8
	v_add_f16_e32 v8, v12, v18
	v_sub_f16_e32 v12, v12, v18
	s_delay_alu instid0(VALU_DEP_4) | instskip(NEXT) | instid1(VALU_DEP_4)
	v_pack_b32_f16 v6, v19, v15
	v_pack_b32_f16 v14, v244, v14
	s_delay_alu instid0(VALU_DEP_4) | instskip(NEXT) | instid1(VALU_DEP_1)
	v_fma_f16 v8, -0.5, v8, v243
	v_fmamk_f16 v18, v13, 0x3aee, v8
	v_fmac_f16_e32 v8, 0xbaee, v13
	v_add_f16_e32 v13, v114, v21
	v_fmamk_f16 v21, v12, 0xbaee, v94
	v_fmac_f16_e32 v94, 0x3aee, v12
	v_add_f16_e32 v12, v17, v20
	s_delay_alu instid0(VALU_DEP_4) | instskip(NEXT) | instid1(VALU_DEP_4)
	v_pack_b32_f16 v5, v95, v13
	v_pack_b32_f16 v10, v18, v21
	s_delay_alu instid0(VALU_DEP_4)
	v_pack_b32_f16 v8, v8, v94
	ds_store_b32 v209, v5 offset:17496
	ds_store_b32 v209, v10 offset:20412
	;; [unrolled: 1-line block ×3, first 2 shown]
	v_pack_b32_f16 v5, v12, v16
	ds_store_b32 v205, v5 offset:17496
	ds_store_b32 v205, v6 offset:20412
	;; [unrolled: 1-line block ×6, first 2 shown]
	v_lshlrev_b32_e32 v0, 3, v88
	global_wb scope:SCOPE_SE
	s_wait_dscnt 0x0
	s_barrier_signal -1
	s_barrier_wait -1
	global_inv scope:SCOPE_SE
	s_clause 0x3
	global_load_b64 v[88:89], v98, s[6:7] offset:8736
	global_load_b64 v[94:95], v99, s[6:7] offset:8736
	;; [unrolled: 1-line block ×4, first 2 shown]
	ds_load_2addr_b32 v[114:115], v185 offset0:6 offset1:249
	s_wait_dscnt 0x0
	v_lshrrev_b32_e32 v0, 16, v114
	v_lshrrev_b32_e32 v4, 16, v115
	s_wait_loadcnt 0x3
	v_lshrrev_b32_e32 v216, 16, v89
	s_wait_loadcnt 0x2
	v_lshrrev_b32_e32 v154, 16, v95
	v_lshrrev_b32_e32 v153, 16, v88
	;; [unrolled: 1-line block ×3, first 2 shown]
	s_wait_loadcnt 0x1
	v_lshrrev_b32_e32 v223, 16, v98
	v_mul_f16_e64 v2, v114, v216
	v_mul_f16_e64 v11, v115, v154
	v_lshrrev_b32_e32 v225, 16, v99
	s_wait_loadcnt 0x0
	v_lshrrev_b32_e32 v229, 16, v103
	v_lshrrev_b32_e32 v231, 16, v102
	v_fmac_f16_e32 v2, v0, v89
	v_mul_f16_e64 v0, v0, v216
	v_fmac_f16_e32 v11, v4, v95
	s_delay_alu instid0(VALU_DEP_2) | instskip(SKIP_1) | instid1(VALU_DEP_1)
	v_fma_f16 v3, v114, v89, -v0
	v_mul_f16_e64 v0, v4, v154
	v_fma_f16 v10, v115, v95, -v0
	ds_load_2addr_b32 v[0:1], v186 offset0:8 offset1:251
	ds_load_2addr_b32 v[114:115], v120 offset1:243
	s_wait_dscnt 0x1
	v_lshrrev_b32_e32 v5, 16, v1
	v_mul_f16_e64 v6, v1, v153
	s_wait_dscnt 0x0
	v_lshrrev_b32_e32 v15, 16, v115
	s_delay_alu instid0(VALU_DEP_2) | instskip(SKIP_1) | instid1(VALU_DEP_2)
	v_fmac_f16_e32 v6, v5, v88
	v_mul_f16_e64 v5, v5, v153
	v_sub_f16_e32 v7, v6, v2
	s_delay_alu instid0(VALU_DEP_2) | instskip(SKIP_1) | instid1(VALU_DEP_2)
	v_fma_f16 v1, v1, v88, -v5
	v_add_f16_e32 v12, v6, v2
	v_add_f16_e32 v5, v1, v3
	s_delay_alu instid0(VALU_DEP_1) | instskip(NEXT) | instid1(VALU_DEP_1)
	v_fma_f16 v5, -0.5, v5, v114
	v_fmamk_f16 v8, v7, 0x3aee, v5
	v_fmac_f16_e32 v5, 0xbaee, v7
	v_lshrrev_b32_e32 v7, 16, v114
	s_delay_alu instid0(VALU_DEP_1) | instskip(SKIP_3) | instid1(VALU_DEP_4)
	v_add_f16_e32 v6, v7, v6
	v_fmac_f16_e32 v7, -0.5, v12
	v_sub_f16_e32 v12, v1, v3
	v_add_f16_e32 v1, v114, v1
	v_add_f16_e32 v2, v6, v2
	s_delay_alu instid0(VALU_DEP_3) | instskip(SKIP_1) | instid1(VALU_DEP_4)
	v_fmamk_f16 v13, v12, 0xbaee, v7
	v_fmac_f16_e32 v7, 0x3aee, v12
	v_add_f16_e32 v1, v1, v3
	s_delay_alu instid0(VALU_DEP_3) | instskip(NEXT) | instid1(VALU_DEP_3)
	v_pack_b32_f16 v3, v8, v13
	v_pack_b32_f16 v5, v5, v7
	ds_store_b32 v120, v3 offset:8748
	ds_store_b32 v120, v5 offset:17496
	ds_load_2addr_b32 v[116:117], v176 offset0:6 offset1:249
	v_pack_b32_f16 v12, v1, v2
	s_wait_dscnt 0x0
	v_lshrrev_b32_e32 v1, 16, v116
	v_mul_f16_e64 v13, v116, v221
	s_delay_alu instid0(VALU_DEP_1) | instskip(SKIP_1) | instid1(VALU_DEP_2)
	v_fmac_f16_e32 v13, v1, v94
	v_mul_f16_e64 v1, v1, v221
	v_add_f16_e32 v2, v15, v13
	s_delay_alu instid0(VALU_DEP_2) | instskip(NEXT) | instid1(VALU_DEP_2)
	v_fma_f16 v14, v116, v94, -v1
	v_add_f16_e32 v2, v2, v11
	s_delay_alu instid0(VALU_DEP_2) | instskip(NEXT) | instid1(VALU_DEP_1)
	v_add_f16_e32 v1, v115, v14
	v_add_f16_e32 v1, v1, v10
	s_delay_alu instid0(VALU_DEP_1)
	v_pack_b32_f16 v16, v1, v2
	ds_load_b32 v17, v120 offset:25272
	ds_load_2addr_b32 v[243:244], v171 offset0:6 offset1:249
	ds_load_2addr_b32 v[245:246], v179 offset0:12 offset1:255
	;; [unrolled: 1-line block ×8, first 2 shown]
	ds_load_2addr_b32 v[7:8], v139 offset1:243
	ds_store_2addr_b32 v120, v12, v16 offset1:243
	v_add_f16_e32 v12, v14, v10
	v_sub_f16_e32 v10, v14, v10
	s_delay_alu instid0(VALU_DEP_2)
	v_fmac_f16_e32 v115, -0.5, v12
	v_add_f16_e32 v12, v13, v11
	v_sub_f16_e32 v11, v13, v11
	v_lshrrev_b32_e32 v13, 16, v117
	s_wait_dscnt 0x8
	v_mul_f16_e64 v16, v245, v225
	v_lshrrev_b32_e32 v18, 16, v243
	v_fmac_f16_e32 v15, -0.5, v12
	v_fmamk_f16 v12, v11, 0x3aee, v115
	v_fmac_f16_e32 v115, 0xbaee, v11
	v_mul_f16_e64 v14, v13, v223
	s_delay_alu instid0(VALU_DEP_4) | instskip(SKIP_1) | instid1(VALU_DEP_3)
	v_fmamk_f16 v11, v10, 0xbaee, v15
	v_fmac_f16_e32 v15, 0x3aee, v10
	v_fma_f16 v14, v117, v98, -v14
	s_delay_alu instid0(VALU_DEP_3) | instskip(NEXT) | instid1(VALU_DEP_3)
	v_pack_b32_f16 v11, v12, v11
	v_pack_b32_f16 v10, v115, v15
	v_mul_f16_e64 v15, v117, v223
	s_delay_alu instid0(VALU_DEP_1) | instskip(SKIP_1) | instid1(VALU_DEP_2)
	v_fmac_f16_e32 v15, v13, v98
	v_lshrrev_b32_e32 v13, 16, v245
	v_add_f16_e32 v20, v18, v15
	s_delay_alu instid0(VALU_DEP_2) | instskip(SKIP_1) | instid1(VALU_DEP_2)
	v_mul_f16_e64 v12, v13, v225
	v_fmac_f16_e32 v16, v13, v99
	v_fma_f16 v12, v245, v99, -v12
	s_delay_alu instid0(VALU_DEP_2) | instskip(SKIP_1) | instid1(VALU_DEP_3)
	v_add_f16_e32 v19, v15, v16
	v_sub_f16_e32 v15, v15, v16
	v_add_f16_e32 v13, v14, v12
	s_delay_alu instid0(VALU_DEP_3) | instskip(SKIP_2) | instid1(VALU_DEP_4)
	v_fmac_f16_e32 v18, -0.5, v19
	v_sub_f16_e32 v19, v14, v12
	v_add_f16_e64 v14, v243, v14
	v_fma_f16 v13, -0.5, v13, v243
	s_delay_alu instid0(VALU_DEP_3) | instskip(SKIP_1) | instid1(VALU_DEP_4)
	v_fmamk_f16 v114, v19, 0xbaee, v18
	v_fmac_f16_e32 v18, 0x3aee, v19
	v_add_f16_e32 v12, v14, v12
	s_delay_alu instid0(VALU_DEP_4) | instskip(SKIP_3) | instid1(VALU_DEP_4)
	v_fmamk_f16 v21, v15, 0x3aee, v13
	v_fmac_f16_e32 v13, 0xbaee, v15
	v_add_f16_e32 v14, v20, v16
	v_lshrrev_b32_e32 v16, 16, v244
	v_pack_b32_f16 v21, v21, v114
	ds_store_2addr_b32 v176, v11, v21 offset0:6 offset1:249
	v_pack_b32_f16 v11, v13, v18
	v_mul_f16_e64 v13, v246, v229
	ds_store_2addr_b32 v165, v10, v11 offset0:9 offset1:252
	v_lshrrev_b32_e32 v10, 16, v246
	s_delay_alu instid0(VALU_DEP_1)
	v_mul_f16_e64 v11, v10, v229
	v_fmac_f16_e32 v13, v10, v103
	v_pack_b32_f16 v10, v12, v14
	s_wait_dscnt 0x9
	v_lshrrev_b32_e32 v12, 16, v247
	v_mul_f16_e64 v14, v247, v231
	v_fma_f16 v11, v246, v103, -v11
	s_delay_alu instid0(VALU_DEP_2) | instskip(SKIP_1) | instid1(VALU_DEP_2)
	v_fmac_f16_e32 v14, v12, v102
	v_mul_f16_e64 v12, v12, v231
	v_add_f16_e32 v18, v16, v14
	s_delay_alu instid0(VALU_DEP_2) | instskip(NEXT) | instid1(VALU_DEP_2)
	v_fma_f16 v12, v247, v102, -v12
	v_add_f16_e32 v18, v18, v13
	s_delay_alu instid0(VALU_DEP_2) | instskip(NEXT) | instid1(VALU_DEP_1)
	v_add_f16_e64 v15, v244, v12
	v_add_f16_e32 v15, v15, v11
	s_delay_alu instid0(VALU_DEP_1)
	v_pack_b32_f16 v15, v15, v18
	s_wait_dscnt 0x8
	v_lshrrev_b32_e32 v18, 16, v249
	ds_store_2addr_b32 v171, v10, v15 offset0:6 offset1:249
	v_add_f16_e32 v10, v12, v11
	v_lshlrev_b32_e32 v15, 3, v112
	s_delay_alu instid0(VALU_DEP_2) | instskip(SKIP_3) | instid1(VALU_DEP_3)
	v_fmac_f16_e64 v244, -0.5, v10
	v_add_f16_e32 v10, v14, v13
	v_sub_f16_e32 v13, v14, v13
	v_lshlrev_b32_e32 v14, 3, v111
	v_fmac_f16_e32 v16, -0.5, v10
	v_sub_f16_e32 v10, v12, v11
	s_delay_alu instid0(VALU_DEP_4) | instskip(SKIP_2) | instid1(VALU_DEP_4)
	v_fma_f16 v11, 0x3aee, v13, v244
	v_fmac_f16_e64 v244, 0xbaee, v13
	v_lshlrev_b32_e32 v13, 3, v113
	v_fmamk_f16 v12, v10, 0xbaee, v16
	v_fmac_f16_e32 v16, 0x3aee, v10
	s_delay_alu instid0(VALU_DEP_2) | instskip(NEXT) | instid1(VALU_DEP_2)
	v_pack_b32_f16 v11, v11, v12
	v_pack_b32_f16 v10, v244, v16
	v_lshlrev_b32_e32 v16, 3, v110
	s_clause 0x3
	global_load_b64 v[110:111], v13, s[6:7] offset:8736
	global_load_b64 v[112:113], v14, s[6:7] offset:8736
	;; [unrolled: 1-line block ×4, first 2 shown]
	v_lshrrev_b32_e32 v13, 16, v248
	s_wait_loadcnt 0x3
	v_lshrrev_b32_e32 v161, 16, v110
	v_lshrrev_b32_e32 v239, 16, v111
	s_wait_loadcnt 0x2
	v_lshrrev_b32_e32 v243, 16, v113
	v_lshrrev_b32_e32 v244, 16, v112
	s_wait_loadcnt 0x1
	v_lshrrev_b32_e32 v245, 16, v114
	v_mul_f16_e64 v15, v248, v161
	v_mul_f16_e64 v14, v13, v161
	s_wait_dscnt 0x8
	v_mul_f16_e64 v16, v1, v239
	v_lshrrev_b32_e32 v165, 16, v115
	s_wait_loadcnt 0x0
	v_lshrrev_b32_e32 v246, 16, v117
	v_fmac_f16_e32 v15, v13, v110
	v_lshrrev_b32_e32 v13, 16, v1
	v_fma_f16 v14, v248, v110, -v14
	v_lshrrev_b32_e32 v247, 16, v116
	s_delay_alu instid0(VALU_DEP_4) | instskip(NEXT) | instid1(VALU_DEP_4)
	v_add_f16_e32 v20, v18, v15
	v_mul_f16_e64 v12, v13, v239
	v_fmac_f16_e32 v16, v13, v111
	s_delay_alu instid0(VALU_DEP_2) | instskip(NEXT) | instid1(VALU_DEP_2)
	v_fma_f16 v1, v1, v111, -v12
	v_add_f16_e32 v19, v15, v16
	v_sub_f16_e32 v13, v15, v16
	s_delay_alu instid0(VALU_DEP_3) | instskip(NEXT) | instid1(VALU_DEP_3)
	v_add_f16_e32 v12, v14, v1
	v_fmac_f16_e32 v18, -0.5, v19
	v_sub_f16_e32 v15, v14, v1
	s_delay_alu instid0(VALU_DEP_3) | instskip(NEXT) | instid1(VALU_DEP_2)
	v_fma_f16 v12, -0.5, v12, v249
	v_fmamk_f16 v21, v15, 0xbaee, v18
	v_fmac_f16_e32 v18, 0x3aee, v15
	s_delay_alu instid0(VALU_DEP_3) | instskip(SKIP_2) | instid1(VALU_DEP_3)
	v_fmamk_f16 v19, v13, 0x3aee, v12
	v_fmac_f16_e32 v12, 0xbaee, v13
	v_lshrrev_b32_e32 v13, 16, v250
	v_pack_b32_f16 v19, v19, v21
	ds_store_2addr_b32 v160, v11, v19 offset0:4 offset1:247
	v_pack_b32_f16 v11, v12, v18
	v_add_f16_e64 v12, v249, v14
	ds_store_2addr_b32 v170, v10, v11 offset0:7 offset1:250
	v_lshrrev_b32_e32 v10, 16, v2
	v_add_f16_e32 v1, v12, v1
	v_add_f16_e32 v12, v20, v16
	s_delay_alu instid0(VALU_DEP_3) | instskip(NEXT) | instid1(VALU_DEP_2)
	v_mul_f16_e64 v11, v10, v243
	v_pack_b32_f16 v1, v1, v12
	s_wait_dscnt 0x9
	v_mul_f16_e64 v12, v3, v244
	s_delay_alu instid0(VALU_DEP_3) | instskip(SKIP_1) | instid1(VALU_DEP_1)
	v_fma_f16 v11, v2, v113, -v11
	v_mul_f16_e64 v2, v2, v243
	v_fmac_f16_e32 v2, v10, v113
	v_lshrrev_b32_e32 v10, 16, v3
	s_delay_alu instid0(VALU_DEP_1) | instskip(SKIP_1) | instid1(VALU_DEP_2)
	v_fmac_f16_e32 v12, v10, v112
	v_mul_f16_e64 v10, v10, v244
	v_add_f16_e32 v14, v13, v12
	s_delay_alu instid0(VALU_DEP_2) | instskip(NEXT) | instid1(VALU_DEP_2)
	v_fma_f16 v3, v3, v112, -v10
	v_add_f16_e32 v14, v14, v2
	s_delay_alu instid0(VALU_DEP_2) | instskip(NEXT) | instid1(VALU_DEP_1)
	v_add_f16_e64 v10, v250, v3
	v_add_f16_e32 v10, v10, v11
	s_delay_alu instid0(VALU_DEP_1) | instskip(SKIP_3) | instid1(VALU_DEP_2)
	v_pack_b32_f16 v10, v10, v14
	ds_store_2addr_b32 v157, v1, v10 offset0:12 offset1:255
	v_add_f16_e32 v1, v3, v11
	v_lshrrev_b32_e32 v10, 16, v4
	v_fmac_f16_e64 v250, -0.5, v1
	v_add_f16_e32 v1, v12, v2
	v_sub_f16_e32 v2, v12, v2
	s_wait_dscnt 0x8
	v_mul_f16_e64 v12, v5, v165
	s_delay_alu instid0(VALU_DEP_3) | instskip(SKIP_4) | instid1(VALU_DEP_4)
	v_fmac_f16_e32 v13, -0.5, v1
	v_sub_f16_e32 v1, v3, v11
	v_mul_f16_e64 v11, v10, v245
	v_fma_f16 v3, 0x3aee, v2, v250
	v_fmac_f16_e64 v250, 0xbaee, v2
	v_fmamk_f16 v2, v1, 0xbaee, v13
	s_delay_alu instid0(VALU_DEP_4) | instskip(SKIP_2) | instid1(VALU_DEP_4)
	v_fma_f16 v11, v4, v114, -v11
	v_mul_f16_e64 v4, v4, v245
	v_fmac_f16_e32 v13, 0x3aee, v1
	v_pack_b32_f16 v2, v3, v2
	s_delay_alu instid0(VALU_DEP_3) | instskip(SKIP_1) | instid1(VALU_DEP_4)
	v_fmac_f16_e32 v4, v10, v114
	v_lshrrev_b32_e32 v10, 16, v5
	v_pack_b32_f16 v1, v250, v13
	v_lshrrev_b32_e32 v13, 16, v118
	s_delay_alu instid0(VALU_DEP_3) | instskip(SKIP_1) | instid1(VALU_DEP_3)
	v_mul_f16_e64 v3, v10, v165
	v_fmac_f16_e32 v12, v10, v115
	v_add_f16_e32 v15, v13, v4
	s_delay_alu instid0(VALU_DEP_3) | instskip(NEXT) | instid1(VALU_DEP_3)
	v_fma_f16 v3, v5, v115, -v3
	v_add_f16_e32 v14, v4, v12
	v_sub_f16_e32 v4, v4, v12
	s_delay_alu instid0(VALU_DEP_3) | instskip(NEXT) | instid1(VALU_DEP_3)
	v_add_f16_e32 v5, v11, v3
	v_fmac_f16_e32 v13, -0.5, v14
	v_sub_f16_e32 v10, v11, v3
	s_delay_alu instid0(VALU_DEP_3) | instskip(NEXT) | instid1(VALU_DEP_2)
	v_fma_f16 v5, -0.5, v5, v118
	v_fmamk_f16 v16, v10, 0xbaee, v13
	v_fmac_f16_e32 v13, 0x3aee, v10
	s_delay_alu instid0(VALU_DEP_3) | instskip(SKIP_2) | instid1(VALU_DEP_3)
	v_fmamk_f16 v14, v4, 0x3aee, v5
	v_fmac_f16_e32 v5, 0xbaee, v4
	v_mul_f16_e64 v4, v6, v246
	v_pack_b32_f16 v14, v14, v16
	ds_store_2addr_b32 v147, v2, v14 offset0:10 offset1:253
	v_pack_b32_f16 v2, v5, v13
	v_add_f16_e32 v5, v118, v11
	ds_store_2addr_b32 v168, v1, v2 offset0:5 offset1:248
	v_lshrrev_b32_e32 v1, 16, v6
	v_add_f16_e32 v3, v5, v3
	v_add_f16_e32 v5, v15, v12
	s_delay_alu instid0(VALU_DEP_3) | instskip(SKIP_1) | instid1(VALU_DEP_3)
	v_mul_f16_e64 v2, v1, v246
	v_fmac_f16_e32 v4, v1, v117
	v_pack_b32_f16 v1, v3, v5
	s_wait_dscnt 0x9
	v_lshrrev_b32_e32 v3, 16, v7
	v_mul_f16_e64 v5, v7, v247
	v_fma_f16 v2, v6, v117, -v2
	s_delay_alu instid0(VALU_DEP_2) | instskip(SKIP_1) | instid1(VALU_DEP_1)
	v_fmac_f16_e32 v5, v3, v116
	v_mul_f16_e64 v3, v3, v247
	v_fma_f16 v3, v7, v116, -v3
	v_lshrrev_b32_e32 v7, 16, v119
	s_delay_alu instid0(VALU_DEP_2) | instskip(NEXT) | instid1(VALU_DEP_2)
	v_add_f16_e32 v6, v119, v3
	v_add_f16_e32 v10, v7, v5
	s_delay_alu instid0(VALU_DEP_2) | instskip(NEXT) | instid1(VALU_DEP_2)
	v_add_f16_e32 v6, v6, v2
	v_add_f16_e32 v10, v10, v4
	s_delay_alu instid0(VALU_DEP_1) | instskip(SKIP_2) | instid1(VALU_DEP_1)
	v_pack_b32_f16 v6, v6, v10
	ds_store_2addr_b32 v141, v1, v6 offset0:2 offset1:245
	v_add_f16_e32 v1, v3, v2
	v_fmac_f16_e32 v119, -0.5, v1
	v_add_f16_e32 v1, v5, v4
	v_sub_f16_e32 v4, v5, v4
	s_delay_alu instid0(VALU_DEP_2) | instskip(SKIP_1) | instid1(VALU_DEP_3)
	v_fmac_f16_e32 v7, -0.5, v1
	v_sub_f16_e32 v1, v3, v2
	v_fmamk_f16 v2, v4, 0x3aee, v119
	v_fmac_f16_e32 v119, 0xbaee, v4
	v_lshlrev_b32_e32 v4, 3, v9
	v_lshrrev_b32_e32 v9, 16, v0
	v_fmamk_f16 v3, v1, 0xbaee, v7
	v_fmac_f16_e32 v7, 0x3aee, v1
	s_delay_alu instid0(VALU_DEP_2) | instskip(NEXT) | instid1(VALU_DEP_2)
	v_pack_b32_f16 v2, v2, v3
	v_pack_b32_f16 v1, v119, v7
	global_load_b64 v[118:119], v4, s[6:7] offset:8736
	v_lshrrev_b32_e32 v4, 16, v8
	s_wait_loadcnt 0x0
	v_lshrrev_b32_e32 v249, 16, v118
	v_lshrrev_b32_e32 v248, 16, v119
	s_delay_alu instid0(VALU_DEP_2) | instskip(SKIP_1) | instid1(VALU_DEP_2)
	v_mul_f16_e64 v6, v8, v249
	v_mul_f16_e64 v5, v4, v249
	v_fmac_f16_e32 v6, v4, v118
	v_lshrrev_b32_e32 v4, 16, v17
	s_delay_alu instid0(VALU_DEP_3) | instskip(SKIP_1) | instid1(VALU_DEP_3)
	v_fma_f16 v5, v8, v118, -v5
	v_mul_f16_e64 v8, v17, v248
	v_mul_f16_e64 v7, v4, v248
	s_delay_alu instid0(VALU_DEP_3) | instskip(NEXT) | instid1(VALU_DEP_3)
	v_add_f16_e32 v10, v0, v5
	v_fmac_f16_e32 v8, v4, v119
	s_delay_alu instid0(VALU_DEP_3) | instskip(NEXT) | instid1(VALU_DEP_1)
	v_fma_f16 v7, v17, v119, -v7
	v_add_f16_e32 v4, v5, v7
	s_delay_alu instid0(VALU_DEP_1) | instskip(NEXT) | instid1(VALU_DEP_4)
	v_fmac_f16_e32 v0, -0.5, v4
	v_sub_f16_e32 v4, v6, v8
	s_delay_alu instid0(VALU_DEP_1) | instskip(SKIP_3) | instid1(VALU_DEP_2)
	v_fmamk_f16 v11, v4, 0x3aee, v0
	v_fmac_f16_e32 v0, 0xbaee, v4
	v_add_f16_e32 v4, v6, v8
	v_add_f16_e32 v6, v9, v6
	v_fmac_f16_e32 v9, -0.5, v4
	v_sub_f16_e32 v4, v5, v7
	s_delay_alu instid0(VALU_DEP_1) | instskip(SKIP_1) | instid1(VALU_DEP_2)
	v_fmamk_f16 v5, v4, 0xbaee, v9
	v_fmac_f16_e32 v9, 0x3aee, v4
	v_pack_b32_f16 v3, v11, v5
	s_delay_alu instid0(VALU_DEP_2) | instskip(SKIP_4) | instid1(VALU_DEP_1)
	v_pack_b32_f16 v0, v0, v9
	ds_store_2addr_b32 v139, v2, v3 offset1:243
	ds_store_2addr_b32 v173, v1, v0 offset0:11 offset1:254
	v_add_f16_e32 v0, v10, v7
	v_add_f16_e32 v1, v6, v8
	v_pack_b32_f16 v0, v0, v1
	ds_store_b32 v120, v0 offset:7776
	global_wb scope:SCOPE_SE
	s_wait_dscnt 0x0
	s_barrier_signal -1
	s_barrier_wait -1
	global_inv scope:SCOPE_SE
	s_clause 0x1
	global_load_b32 v2, v120, s[4:5] offset:26244
	global_load_b32 v5, v120, s[2:3] offset:25272
	ds_load_2addr_b32 v[0:1], v120 offset1:243
	s_wait_dscnt 0x0
	v_lshrrev_b32_e32 v4, 16, v0
	s_wait_loadcnt 0x1
	v_lshrrev_b32_e32 v3, 16, v2
	s_delay_alu instid0(VALU_DEP_1) | instskip(NEXT) | instid1(VALU_DEP_3)
	v_mul_f16_e32 v6, v0, v3
	v_mul_f16_e32 v3, v4, v3
	s_delay_alu instid0(VALU_DEP_2) | instskip(NEXT) | instid1(VALU_DEP_2)
	v_fmac_f16_e32 v6, v4, v2
	v_fma_f16 v0, v0, v2, -v3
	s_delay_alu instid0(VALU_DEP_1)
	v_pack_b32_f16 v0, v0, v6
	ds_store_b32 v120, v0
	s_clause 0x7
	global_load_b32 v0, v120, s[2:3] offset:8748
	global_load_b32 v6, v120, s[2:3] offset:9720
	;; [unrolled: 1-line block ×8, first 2 shown]
	ds_load_2addr_b32 v[2:3], v186 offset0:8 offset1:251
	s_wait_dscnt 0x0
	v_lshrrev_b32_e32 v13, 16, v3
	s_wait_loadcnt 0x7
	v_lshrrev_b32_e32 v4, 16, v0
	s_delay_alu instid0(VALU_DEP_1) | instskip(NEXT) | instid1(VALU_DEP_3)
	v_mul_f16_e32 v14, v3, v4
	v_mul_f16_e32 v4, v13, v4
	s_delay_alu instid0(VALU_DEP_2) | instskip(NEXT) | instid1(VALU_DEP_2)
	v_fmac_f16_e32 v14, v13, v0
	v_fma_f16 v0, v3, v0, -v4
	ds_load_2addr_b32 v[3:4], v176 offset0:6 offset1:249
	s_wait_loadcnt 0x6
	v_lshrrev_b32_e32 v13, 16, v6
	v_pack_b32_f16 v0, v0, v14
	s_wait_dscnt 0x0
	v_lshrrev_b32_e32 v15, 16, v3
	s_delay_alu instid0(VALU_DEP_3) | instskip(NEXT) | instid1(VALU_DEP_2)
	v_mul_f16_e32 v16, v3, v13
	v_mul_f16_e32 v13, v15, v13
	s_delay_alu instid0(VALU_DEP_2) | instskip(NEXT) | instid1(VALU_DEP_2)
	v_fmac_f16_e32 v16, v15, v6
	v_fma_f16 v3, v3, v6, -v13
	v_add_nc_u32_e32 v6, 0x2200, v120
	s_delay_alu instid0(VALU_DEP_2)
	v_pack_b32_f16 v3, v3, v16
	v_lshrrev_b32_e32 v16, 16, v1
	ds_store_2addr_b32 v6, v0, v3 offset0:11 offset1:254
	s_clause 0x6
	global_load_b32 v0, v120, s[2:3] offset:972
	global_load_b32 v3, v120, s[2:3] offset:1944
	;; [unrolled: 1-line block ×7, first 2 shown]
	ds_load_b32 v18, v120 offset:25272
	s_wait_loadcnt 0x6
	v_lshrrev_b32_e32 v19, 16, v0
	s_delay_alu instid0(VALU_DEP_1) | instskip(SKIP_1) | instid1(VALU_DEP_2)
	v_mul_f16_e32 v20, v16, v19
	v_mul_f16_e32 v19, v1, v19
	v_fma_f16 v20, v1, v0, -v20
	s_delay_alu instid0(VALU_DEP_2)
	v_fmac_f16_e32 v19, v16, v0
	ds_load_2addr_b32 v[0:1], v171 offset0:6 offset1:249
	s_wait_loadcnt 0x5
	v_lshrrev_b32_e32 v16, 16, v3
	s_wait_dscnt 0x0
	v_lshrrev_b32_e32 v21, 16, v0
	s_delay_alu instid0(VALU_DEP_2) | instskip(NEXT) | instid1(VALU_DEP_2)
	v_mul_f16_e64 v250, v0, v16
	v_mul_f16_e32 v16, v21, v16
	s_delay_alu instid0(VALU_DEP_2) | instskip(NEXT) | instid1(VALU_DEP_2)
	v_fmac_f16_e64 v250, v21, v3
	v_fma_f16 v0, v0, v3, -v16
	v_pack_b32_f16 v3, v20, v19
	v_add_nc_u32_e32 v16, 0x3c0, v120
	s_delay_alu instid0(VALU_DEP_3) | instskip(SKIP_3) | instid1(VALU_DEP_1)
	v_pack_b32_f16 v0, v0, v250
	ds_store_2addr_b32 v16, v3, v0 offset0:3 offset1:246
	v_lshrrev_b32_e32 v0, 16, v4
	v_lshrrev_b32_e32 v3, 16, v7
	v_mul_f16_e32 v16, v0, v3
	v_mul_f16_e32 v19, v4, v3
	s_delay_alu instid0(VALU_DEP_2)
	v_fma_f16 v16, v4, v7, -v16
	ds_load_2addr_b32 v[3:4], v160 offset0:4 offset1:247
	v_fmac_f16_e32 v19, v0, v7
	v_lshrrev_b32_e32 v0, 16, v8
	s_wait_dscnt 0x0
	v_lshrrev_b32_e32 v7, 16, v3
	s_delay_alu instid0(VALU_DEP_2) | instskip(NEXT) | instid1(VALU_DEP_2)
	v_mul_f16_e32 v20, v3, v0
	v_mul_f16_e32 v0, v7, v0
	s_delay_alu instid0(VALU_DEP_2) | instskip(SKIP_1) | instid1(VALU_DEP_3)
	v_fmac_f16_e32 v20, v7, v8
	v_add_nc_u32_e32 v7, 0x29c0, v120
	v_fma_f16 v0, v3, v8, -v0
	v_pack_b32_f16 v3, v16, v19
	s_delay_alu instid0(VALU_DEP_2) | instskip(SKIP_4) | instid1(VALU_DEP_1)
	v_pack_b32_f16 v0, v0, v20
	ds_store_2addr_b32 v7, v3, v0 offset0:1 offset1:244
	v_lshrrev_b32_e32 v0, 16, v1
	s_wait_loadcnt 0x4
	v_lshrrev_b32_e32 v3, 16, v6
	v_mul_f16_e32 v7, v0, v3
	v_mul_f16_e32 v3, v1, v3
	s_delay_alu instid0(VALU_DEP_2) | instskip(NEXT) | instid1(VALU_DEP_2)
	v_fma_f16 v7, v1, v6, -v7
	v_fmac_f16_e32 v3, v0, v6
	ds_load_2addr_b32 v[0:1], v157 offset0:12 offset1:255
	s_wait_loadcnt 0x3
	v_lshrrev_b32_e32 v6, 16, v13
	v_pack_b32_f16 v3, v7, v3
	s_wait_dscnt 0x0
	v_lshrrev_b32_e32 v8, 16, v0
	s_delay_alu instid0(VALU_DEP_3) | instskip(NEXT) | instid1(VALU_DEP_2)
	v_mul_f16_e32 v16, v0, v6
	v_mul_f16_e32 v6, v8, v6
	s_delay_alu instid0(VALU_DEP_2) | instskip(NEXT) | instid1(VALU_DEP_2)
	v_fmac_f16_e32 v16, v8, v13
	v_fma_f16 v0, v0, v13, -v6
	v_add_nc_u32_e32 v6, 0xb40, v120
	s_delay_alu instid0(VALU_DEP_2) | instskip(SKIP_3) | instid1(VALU_DEP_1)
	v_pack_b32_f16 v0, v0, v16
	ds_store_2addr_b32 v6, v3, v0 offset0:9 offset1:252
	v_lshrrev_b32_e32 v0, 16, v4
	v_lshrrev_b32_e32 v3, 16, v9
	v_mul_f16_e32 v6, v0, v3
	v_mul_f16_e32 v7, v4, v3
	s_delay_alu instid0(VALU_DEP_2)
	v_fma_f16 v6, v4, v9, -v6
	ds_load_2addr_b32 v[3:4], v147 offset0:10 offset1:253
	v_fmac_f16_e32 v7, v0, v9
	v_lshrrev_b32_e32 v0, 16, v10
	s_wait_dscnt 0x0
	v_lshrrev_b32_e32 v8, 16, v3
	s_delay_alu instid0(VALU_DEP_2) | instskip(NEXT) | instid1(VALU_DEP_2)
	v_mul_f16_e32 v9, v3, v0
	v_mul_f16_e32 v0, v8, v0
	s_delay_alu instid0(VALU_DEP_2) | instskip(NEXT) | instid1(VALU_DEP_2)
	v_fmac_f16_e32 v9, v8, v10
	v_fma_f16 v0, v3, v10, -v0
	v_pack_b32_f16 v3, v6, v7
	v_add_nc_u32_e32 v6, 0x3140, v120
	s_wait_loadcnt 0x1
	v_lshrrev_b32_e32 v7, 16, v15
	v_pack_b32_f16 v0, v0, v9
	ds_store_2addr_b32 v6, v3, v0 offset0:7 offset1:250
	v_lshrrev_b32_e32 v0, 16, v1
	v_lshrrev_b32_e32 v3, 16, v14
	s_delay_alu instid0(VALU_DEP_1) | instskip(SKIP_1) | instid1(VALU_DEP_2)
	v_mul_f16_e32 v6, v0, v3
	v_mul_f16_e32 v3, v1, v3
	v_fma_f16 v6, v1, v14, -v6
	s_delay_alu instid0(VALU_DEP_2)
	v_fmac_f16_e32 v3, v0, v14
	ds_load_2addr_b32 v[0:1], v141 offset0:2 offset1:245
	v_pack_b32_f16 v3, v6, v3
	v_add_nc_u32_e32 v6, 0x12e0, v120
	s_wait_dscnt 0x0
	v_lshrrev_b32_e32 v8, 16, v0
	v_mul_f16_e32 v9, v0, v7
	s_delay_alu instid0(VALU_DEP_2) | instskip(NEXT) | instid1(VALU_DEP_2)
	v_mul_f16_e32 v7, v8, v7
	v_fmac_f16_e32 v9, v8, v15
	s_delay_alu instid0(VALU_DEP_2) | instskip(NEXT) | instid1(VALU_DEP_1)
	v_fma_f16 v0, v0, v15, -v7
	v_pack_b32_f16 v0, v0, v9
	ds_store_2addr_b32 v6, v3, v0 offset0:7 offset1:250
	v_lshrrev_b32_e32 v0, 16, v4
	v_lshrrev_b32_e32 v3, 16, v11
	s_delay_alu instid0(VALU_DEP_1) | instskip(SKIP_1) | instid1(VALU_DEP_2)
	v_mul_f16_e32 v6, v0, v3
	v_mul_f16_e32 v7, v4, v3
	v_fma_f16 v6, v4, v11, -v6
	s_delay_alu instid0(VALU_DEP_2)
	v_fmac_f16_e32 v7, v0, v11
	s_clause 0x7
	global_load_b32 v0, v120, s[2:3] offset:15552
	global_load_b32 v8, v120, s[2:3] offset:16524
	;; [unrolled: 1-line block ×8, first 2 shown]
	ds_load_2addr_b32 v[3:4], v139 offset1:243
	s_wait_dscnt 0x0
	v_lshrrev_b32_e32 v19, 16, v3
	s_wait_loadcnt 0x7
	v_lshrrev_b32_e32 v16, 16, v0
	s_delay_alu instid0(VALU_DEP_1) | instskip(NEXT) | instid1(VALU_DEP_3)
	v_mul_f16_e32 v20, v3, v16
	v_mul_f16_e32 v16, v19, v16
	s_delay_alu instid0(VALU_DEP_2) | instskip(NEXT) | instid1(VALU_DEP_2)
	v_fmac_f16_e32 v20, v19, v0
	v_fma_f16 v0, v3, v0, -v16
	v_pack_b32_f16 v3, v6, v7
	v_add_nc_u32_e32 v6, 0x38e0, v120
	s_delay_alu instid0(VALU_DEP_3) | instskip(SKIP_3) | instid1(VALU_DEP_1)
	v_pack_b32_f16 v0, v0, v20
	ds_store_2addr_b32 v6, v3, v0 offset0:5 offset1:248
	v_lshrrev_b32_e32 v0, 16, v1
	v_lshrrev_b32_e32 v3, 16, v17
	v_mul_f16_e32 v6, v0, v3
	v_mul_f16_e32 v3, v1, v3
	s_delay_alu instid0(VALU_DEP_2) | instskip(NEXT) | instid1(VALU_DEP_2)
	v_fma_f16 v1, v1, v17, -v6
	v_fmac_f16_e32 v3, v0, v17
	v_lshrrev_b32_e32 v0, 16, v2
	v_lshrrev_b32_e32 v6, 16, v12
	s_delay_alu instid0(VALU_DEP_1) | instskip(SKIP_1) | instid1(VALU_DEP_2)
	v_mul_f16_e32 v7, v0, v6
	v_mul_f16_e32 v6, v2, v6
	v_fma_f16 v2, v2, v12, -v7
	s_delay_alu instid0(VALU_DEP_2) | instskip(SKIP_1) | instid1(VALU_DEP_2)
	v_fmac_f16_e32 v6, v0, v12
	v_pack_b32_f16 v0, v1, v3
	v_pack_b32_f16 v1, v2, v6
	v_add_nc_u32_e32 v2, 0x1a80, v120
	ds_store_2addr_b32 v2, v0, v1 offset0:5 offset1:248
	s_wait_loadcnt 0x6
	v_lshrrev_b32_e32 v1, 16, v8
	v_lshrrev_b32_e32 v0, 16, v4
	s_delay_alu instid0(VALU_DEP_2) | instskip(NEXT) | instid1(VALU_DEP_2)
	v_mul_f16_e32 v3, v4, v1
	v_mul_f16_e32 v2, v0, v1
	s_delay_alu instid0(VALU_DEP_2) | instskip(SKIP_4) | instid1(VALU_DEP_2)
	v_fmac_f16_e32 v3, v0, v8
	ds_load_2addr_b32 v[0:1], v185 offset0:6 offset1:249
	v_fma_f16 v2, v4, v8, -v2
	s_wait_loadcnt 0x5
	v_lshrrev_b32_e32 v4, 16, v9
	v_pack_b32_f16 v2, v2, v3
	v_add_nc_u32_e32 v3, 0x4080, v120
	s_wait_dscnt 0x0
	v_lshrrev_b32_e32 v6, 16, v0
	v_mul_f16_e32 v7, v0, v4
	s_delay_alu instid0(VALU_DEP_2) | instskip(NEXT) | instid1(VALU_DEP_2)
	v_mul_f16_e32 v4, v6, v4
	v_fmac_f16_e32 v7, v6, v9
	s_delay_alu instid0(VALU_DEP_2) | instskip(SKIP_2) | instid1(VALU_DEP_2)
	v_fma_f16 v0, v0, v9, -v4
	s_wait_loadcnt 0x3
	v_lshrrev_b32_e32 v4, 16, v11
	v_pack_b32_f16 v0, v0, v7
	ds_store_2addr_b32 v3, v2, v0 offset0:3 offset1:246
	v_lshrrev_b32_e32 v0, 16, v1
	v_lshrrev_b32_e32 v2, 16, v10
	s_delay_alu instid0(VALU_DEP_1) | instskip(SKIP_1) | instid1(VALU_DEP_2)
	v_mul_f16_e32 v3, v0, v2
	v_mul_f16_e32 v2, v1, v2
	v_fma_f16 v3, v1, v10, -v3
	s_delay_alu instid0(VALU_DEP_2)
	v_fmac_f16_e32 v2, v0, v10
	ds_load_2addr_b32 v[0:1], v179 offset0:12 offset1:255
	v_pack_b32_f16 v2, v3, v2
	s_wait_dscnt 0x0
	v_lshrrev_b32_e32 v6, 16, v0
	v_mul_f16_e32 v7, v0, v4
	s_delay_alu instid0(VALU_DEP_2) | instskip(NEXT) | instid1(VALU_DEP_2)
	v_mul_f16_e32 v4, v6, v4
	v_fmac_f16_e32 v7, v6, v11
	s_delay_alu instid0(VALU_DEP_2) | instskip(SKIP_2) | instid1(VALU_DEP_2)
	v_fma_f16 v0, v0, v11, -v4
	s_wait_loadcnt 0x1
	v_lshrrev_b32_e32 v4, 16, v14
	v_pack_b32_f16 v0, v0, v7
	ds_store_2addr_b32 v22, v2, v0 offset0:9 offset1:252
	v_lshrrev_b32_e32 v0, 16, v1
	v_lshrrev_b32_e32 v2, 16, v13
	s_delay_alu instid0(VALU_DEP_1) | instskip(SKIP_1) | instid1(VALU_DEP_2)
	v_mul_f16_e32 v3, v0, v2
	v_mul_f16_e32 v2, v1, v2
	v_fma_f16 v3, v1, v13, -v3
	s_delay_alu instid0(VALU_DEP_2)
	v_fmac_f16_e32 v2, v0, v13
	ds_load_2addr_b32 v[0:1], v158 offset0:2 offset1:245
	v_pack_b32_f16 v2, v3, v2
	s_wait_dscnt 0x0
	v_lshrrev_b32_e32 v6, 16, v0
	v_mul_f16_e32 v7, v0, v4
	s_delay_alu instid0(VALU_DEP_2) | instskip(NEXT) | instid1(VALU_DEP_2)
	v_mul_f16_e32 v4, v6, v4
	v_fmac_f16_e32 v7, v6, v14
	s_delay_alu instid0(VALU_DEP_2) | instskip(NEXT) | instid1(VALU_DEP_1)
	v_fma_f16 v0, v0, v14, -v4
	v_pack_b32_f16 v0, v0, v7
	ds_store_2addr_b32 v170, v2, v0 offset0:7 offset1:250
	s_clause 0x1
	global_load_b32 v4, v120, s[2:3] offset:23328
	global_load_b32 v6, v120, s[2:3] offset:24300
	v_lshrrev_b32_e32 v0, 16, v1
	s_wait_loadcnt 0x2
	v_lshrrev_b32_e32 v2, 16, v15
	s_delay_alu instid0(VALU_DEP_1) | instskip(SKIP_1) | instid1(VALU_DEP_2)
	v_mul_f16_e32 v3, v0, v2
	v_mul_f16_e32 v2, v1, v2
	v_fma_f16 v3, v1, v15, -v3
	s_delay_alu instid0(VALU_DEP_2)
	v_fmac_f16_e32 v2, v0, v15
	ds_load_2addr_b32 v[0:1], v142 offset0:8 offset1:251
	v_pack_b32_f16 v2, v3, v2
	s_wait_dscnt 0x0
	v_lshrrev_b32_e32 v8, 16, v0
	s_wait_loadcnt 0x1
	v_lshrrev_b32_e32 v7, 16, v4
	s_delay_alu instid0(VALU_DEP_1) | instskip(NEXT) | instid1(VALU_DEP_3)
	v_mul_f16_e32 v9, v0, v7
	v_mul_f16_e32 v7, v8, v7
	s_delay_alu instid0(VALU_DEP_2) | instskip(NEXT) | instid1(VALU_DEP_2)
	v_fmac_f16_e32 v9, v8, v4
	v_fma_f16 v0, v0, v4, -v7
	v_lshrrev_b32_e32 v4, 16, v1
	s_wait_loadcnt 0x0
	v_lshrrev_b32_e32 v7, 16, v6
	s_delay_alu instid0(VALU_DEP_3) | instskip(NEXT) | instid1(VALU_DEP_2)
	v_pack_b32_f16 v0, v0, v9
	v_mul_f16_e32 v8, v4, v7
	v_mul_f16_e32 v7, v1, v7
	ds_store_2addr_b32 v168, v2, v0 offset0:5 offset1:248
	v_fma_f16 v1, v1, v6, -v8
	v_fmac_f16_e32 v7, v4, v6
	v_lshrrev_b32_e32 v4, 16, v18
	v_lshrrev_b32_e32 v6, 16, v5
	s_delay_alu instid0(VALU_DEP_3) | instskip(NEXT) | instid1(VALU_DEP_2)
	v_pack_b32_f16 v0, v1, v7
	v_mul_f16_e32 v8, v4, v6
	v_mul_f16_e32 v6, v18, v6
	s_delay_alu instid0(VALU_DEP_2) | instskip(NEXT) | instid1(VALU_DEP_2)
	v_fma_f16 v8, v18, v5, -v8
	v_fmac_f16_e32 v6, v4, v5
	s_delay_alu instid0(VALU_DEP_1)
	v_pack_b32_f16 v1, v8, v6
	ds_store_2addr_b32 v173, v0, v1 offset0:11 offset1:254
	global_wb scope:SCOPE_SE
	s_wait_dscnt 0x0
	s_barrier_signal -1
	s_barrier_wait -1
	global_inv scope:SCOPE_SE
	ds_load_2addr_b32 v[12:13], v185 offset0:6 offset1:249
	ds_load_2addr_b32 v[22:23], v186 offset0:8 offset1:251
	ds_load_2addr_b32 v[4:5], v120 offset1:243
	s_wait_dscnt 0x1
	v_pk_add_f16 v0, v23, v12
	v_pk_add_f16 v1, v23, v12 neg_lo:[0,1] neg_hi:[0,1]
	s_wait_dscnt 0x0
	s_delay_alu instid0(VALU_DEP_2) | instskip(NEXT) | instid1(VALU_DEP_2)
	v_pk_fma_f16 v0, v0, 0.5, v4 op_sel_hi:[1,0,1] neg_lo:[1,0,0] neg_hi:[1,0,0]
	v_pk_mul_f16 v1, 0x3aee, v1 op_sel_hi:[0,1]
	s_delay_alu instid0(VALU_DEP_1) | instskip(SKIP_2) | instid1(VALU_DEP_2)
	v_pk_add_f16 v173, v0, v1 op_sel:[0,1] op_sel_hi:[1,0] neg_lo:[0,1] neg_hi:[0,1]
	v_pk_add_f16 v168, v0, v1 op_sel:[0,1] op_sel_hi:[1,0]
	v_pk_add_f16 v0, v4, v23
	v_bfi_b32 v170, 0xffff, v173, v168
	s_delay_alu instid0(VALU_DEP_2)
	v_pk_add_f16 v12, v0, v12
	ds_load_b32 v169, v120 offset:25272
	ds_load_2addr_b32 v[3:4], v176 offset0:6 offset1:249
	ds_load_2addr_b32 v[6:7], v171 offset0:6 offset1:249
	;; [unrolled: 1-line block ×9, first 2 shown]
	ds_load_2addr_b32 v[18:19], v139 offset1:243
	global_wb scope:SCOPE_SE
	s_wait_dscnt 0x0
	s_barrier_signal -1
	s_barrier_wait -1
	global_inv scope:SCOPE_SE
	scratch_load_b32 v2, off, off offset:208 th:TH_LOAD_LU ; 4-byte Folded Reload
	s_wait_loadcnt 0x0
	ds_store_2addr_b32 v2, v12, v170 offset1:1
	v_bfi_b32 v12, 0xffff, v168, v173
	ds_store_b32 v2, v12 offset:8
	scratch_load_b32 v2, off, off offset:216 th:TH_LOAD_LU ; 4-byte Folded Reload
	v_pk_add_f16 v12, v3, v13
	s_delay_alu instid0(VALU_DEP_1) | instskip(SKIP_2) | instid1(VALU_DEP_2)
	v_pk_fma_f16 v12, v12, 0.5, v5 op_sel_hi:[1,0,1] neg_lo:[1,0,0] neg_hi:[1,0,0]
	v_pk_add_f16 v5, v5, v3
	v_pk_add_f16 v3, v3, v13 neg_lo:[0,1] neg_hi:[0,1]
	v_pk_add_f16 v5, v5, v13
	s_delay_alu instid0(VALU_DEP_2) | instskip(NEXT) | instid1(VALU_DEP_1)
	v_pk_mul_f16 v3, 0x3aee, v3 op_sel_hi:[0,1]
	v_pk_add_f16 v13, v12, v3 op_sel:[0,1] op_sel_hi:[1,0] neg_lo:[0,1] neg_hi:[0,1]
	v_pk_add_f16 v3, v12, v3 op_sel:[0,1] op_sel_hi:[1,0]
	s_delay_alu instid0(VALU_DEP_1)
	v_bfi_b32 v12, 0xffff, v13, v3
	v_bfi_b32 v3, 0xffff, v3, v13
	s_wait_loadcnt 0x0
	ds_store_2addr_b32 v2, v5, v12 offset1:1
	ds_store_b32 v2, v3 offset:8
	scratch_load_b32 v2, off, off offset:212 th:TH_LOAD_LU ; 4-byte Folded Reload
	v_pk_add_f16 v3, v4, v8
	v_pk_add_f16 v5, v4, v8 neg_lo:[0,1] neg_hi:[0,1]
	v_pk_add_f16 v4, v6, v4
	s_delay_alu instid0(VALU_DEP_3) | instskip(NEXT) | instid1(VALU_DEP_3)
	v_pk_fma_f16 v3, v3, 0.5, v6 op_sel_hi:[1,0,1] neg_lo:[1,0,0] neg_hi:[1,0,0]
	v_pk_mul_f16 v5, 0x3aee, v5 op_sel_hi:[0,1]
	s_delay_alu instid0(VALU_DEP_3) | instskip(NEXT) | instid1(VALU_DEP_2)
	v_pk_add_f16 v4, v4, v8
	v_pk_add_f16 v12, v3, v5 op_sel:[0,1] op_sel_hi:[1,0] neg_lo:[0,1] neg_hi:[0,1]
	v_pk_add_f16 v3, v3, v5 op_sel:[0,1] op_sel_hi:[1,0]
	s_delay_alu instid0(VALU_DEP_1)
	v_bfi_b32 v5, 0xffff, v12, v3
	v_bfi_b32 v3, 0xffff, v3, v12
	s_wait_loadcnt 0x0
	ds_store_2addr_b32 v2, v4, v5 offset1:1
	ds_store_b32 v2, v3 offset:8
	scratch_load_b32 v2, off, off offset:228 th:TH_LOAD_LU ; 4-byte Folded Reload
	v_pk_add_f16 v3, v250, v9
	v_pk_add_f16 v5, v250, v9 neg_lo:[0,1] neg_hi:[0,1]
	v_pk_add_f16 v4, v7, v250
	s_delay_alu instid0(VALU_DEP_3) | instskip(NEXT) | instid1(VALU_DEP_3)
	v_pk_fma_f16 v3, v3, 0.5, v7 op_sel_hi:[1,0,1] neg_lo:[1,0,0] neg_hi:[1,0,0]
	v_pk_mul_f16 v5, 0x3aee, v5 op_sel_hi:[0,1]
	s_delay_alu instid0(VALU_DEP_3) | instskip(SKIP_1) | instid1(VALU_DEP_3)
	v_pk_add_f16 v4, v4, v9
	v_lshrrev_b32_e32 v7, 16, v252
	v_pk_add_f16 v6, v3, v5 op_sel:[0,1] op_sel_hi:[1,0] neg_lo:[0,1] neg_hi:[0,1]
	v_pk_add_f16 v3, v3, v5 op_sel:[0,1] op_sel_hi:[1,0]
	s_delay_alu instid0(VALU_DEP_1)
	v_bfi_b32 v5, 0xffff, v6, v3
	v_bfi_b32 v3, 0xffff, v3, v6
	s_wait_loadcnt 0x0
	ds_store_2addr_b32 v2, v4, v5 offset1:1
	ds_store_b32 v2, v3 offset:8
	scratch_load_b32 v2, off, off offset:220 th:TH_LOAD_LU ; 4-byte Folded Reload
	v_pk_add_f16 v3, v251, v0
	v_pk_add_f16 v4, v251, v0 neg_lo:[0,1] neg_hi:[0,1]
	s_delay_alu instid0(VALU_DEP_2) | instskip(NEXT) | instid1(VALU_DEP_2)
	v_pk_fma_f16 v3, v3, 0.5, v16 op_sel_hi:[1,0,1] neg_lo:[1,0,0] neg_hi:[1,0,0]
	v_pk_mul_f16 v4, 0x3aee, v4 op_sel_hi:[0,1]
	s_delay_alu instid0(VALU_DEP_1) | instskip(SKIP_2) | instid1(VALU_DEP_2)
	v_pk_add_f16 v5, v3, v4 op_sel:[0,1] op_sel_hi:[1,0] neg_lo:[0,1] neg_hi:[0,1]
	v_pk_add_f16 v3, v3, v4 op_sel:[0,1] op_sel_hi:[1,0]
	v_pk_add_f16 v4, v16, v251
	v_bfi_b32 v6, 0xffff, v5, v3
	s_delay_alu instid0(VALU_DEP_2)
	v_pk_add_f16 v0, v4, v0
	v_bfi_b32 v3, 0xffff, v3, v5
	s_wait_loadcnt 0x0
	ds_store_2addr_b32 v2, v0, v6 offset1:1
	ds_store_b32 v2, v3 offset:8
	scratch_load_b32 v2, off, off offset:240 th:TH_LOAD_LU ; 4-byte Folded Reload
	v_pk_add_f16 v3, v17, v10
	v_pk_add_f16 v0, v10, v1
	v_lshrrev_b32_e32 v6, 16, v127
	s_delay_alu instid0(VALU_DEP_3) | instskip(SKIP_1) | instid1(VALU_DEP_4)
	v_pk_add_f16 v3, v3, v1
	v_pk_add_f16 v1, v10, v1 neg_lo:[0,1] neg_hi:[0,1]
	v_pk_fma_f16 v0, v0, 0.5, v17 op_sel_hi:[1,0,1] neg_lo:[1,0,0] neg_hi:[1,0,0]
	s_delay_alu instid0(VALU_DEP_2) | instskip(NEXT) | instid1(VALU_DEP_1)
	v_pk_mul_f16 v1, 0x3aee, v1 op_sel_hi:[0,1]
	v_pk_add_f16 v4, v0, v1 op_sel:[0,1] op_sel_hi:[1,0] neg_lo:[0,1] neg_hi:[0,1]
	v_pk_add_f16 v0, v0, v1 op_sel:[0,1] op_sel_hi:[1,0]
	s_delay_alu instid0(VALU_DEP_1)
	v_bfi_b32 v1, 0xffff, v4, v0
	v_bfi_b32 v0, 0xffff, v0, v4
	s_wait_loadcnt 0x0
	ds_store_2addr_b32 v2, v3, v1 offset1:1
	ds_store_b32 v2, v0 offset:8
	scratch_load_b32 v2, off, off offset:236 th:TH_LOAD_LU ; 4-byte Folded Reload
	v_pk_add_f16 v0, v11, v14
	v_pk_add_f16 v1, v11, v14 neg_lo:[0,1] neg_hi:[0,1]
	s_delay_alu instid0(VALU_DEP_2) | instskip(NEXT) | instid1(VALU_DEP_2)
	v_pk_fma_f16 v0, v0, 0.5, v20 op_sel_hi:[1,0,1] neg_lo:[1,0,0] neg_hi:[1,0,0]
	v_pk_mul_f16 v1, 0x3aee, v1 op_sel_hi:[0,1]
	s_delay_alu instid0(VALU_DEP_1) | instskip(SKIP_2) | instid1(VALU_DEP_2)
	v_pk_add_f16 v3, v0, v1 op_sel:[0,1] op_sel_hi:[1,0] neg_lo:[0,1] neg_hi:[0,1]
	v_pk_add_f16 v0, v0, v1 op_sel:[0,1] op_sel_hi:[1,0]
	v_pk_add_f16 v1, v20, v11
	v_bfi_b32 v4, 0xffff, v3, v0
	s_delay_alu instid0(VALU_DEP_2)
	v_pk_add_f16 v1, v1, v14
	v_bfi_b32 v0, 0xffff, v0, v3
	s_wait_loadcnt 0x0
	ds_store_2addr_b32 v2, v1, v4 offset1:1
	ds_store_b32 v2, v0 offset:8
	scratch_load_b32 v2, off, off offset:232 th:TH_LOAD_LU ; 4-byte Folded Reload
	v_pk_add_f16 v0, v18, v15
	v_pk_add_f16 v3, v18, v15 neg_lo:[0,1] neg_hi:[0,1]
	v_pk_add_f16 v1, v21, v18
	s_delay_alu instid0(VALU_DEP_3) | instskip(NEXT) | instid1(VALU_DEP_3)
	v_pk_fma_f16 v0, v0, 0.5, v21 op_sel_hi:[1,0,1] neg_lo:[1,0,0] neg_hi:[1,0,0]
	v_pk_mul_f16 v3, 0x3aee, v3 op_sel_hi:[0,1]
	s_delay_alu instid0(VALU_DEP_3) | instskip(NEXT) | instid1(VALU_DEP_2)
	v_pk_add_f16 v1, v1, v15
	v_pk_add_f16 v4, v0, v3 op_sel:[0,1] op_sel_hi:[1,0] neg_lo:[0,1] neg_hi:[0,1]
	v_pk_add_f16 v0, v0, v3 op_sel:[0,1] op_sel_hi:[1,0]
	s_delay_alu instid0(VALU_DEP_1)
	v_bfi_b32 v3, 0xffff, v4, v0
	v_bfi_b32 v0, 0xffff, v0, v4
	s_wait_loadcnt 0x0
	ds_store_2addr_b32 v2, v1, v3 offset1:1
	ds_store_b32 v2, v0 offset:8
	v_pk_add_f16 v0, v19, v169
	v_pk_add_f16 v2, v19, v169 neg_lo:[0,1] neg_hi:[0,1]
	v_pk_add_f16 v1, v22, v19
	v_lshrrev_b32_e32 v4, 16, v123
	s_delay_alu instid0(VALU_DEP_4) | instskip(NEXT) | instid1(VALU_DEP_4)
	v_pk_fma_f16 v0, v0, 0.5, v22 op_sel_hi:[1,0,1] neg_lo:[1,0,0] neg_hi:[1,0,0]
	v_pk_mul_f16 v2, 0x3aee, v2 op_sel_hi:[0,1]
	s_delay_alu instid0(VALU_DEP_4) | instskip(NEXT) | instid1(VALU_DEP_2)
	v_pk_add_f16 v1, v1, v169
	v_pk_add_f16 v3, v0, v2 op_sel:[0,1] op_sel_hi:[1,0] neg_lo:[0,1] neg_hi:[0,1]
	v_pk_add_f16 v0, v0, v2 op_sel:[0,1] op_sel_hi:[1,0]
	s_delay_alu instid0(VALU_DEP_1)
	v_bfi_b32 v2, 0xffff, v3, v0
	v_bfi_b32 v0, 0xffff, v0, v3
	scratch_load_b32 v3, off, off offset:224 th:TH_LOAD_LU ; 4-byte Folded Reload
	s_wait_loadcnt 0x0
	ds_store_2addr_b32 v3, v1, v2 offset1:1
	ds_store_b32 v3, v0 offset:8
	global_wb scope:SCOPE_SE
	s_wait_dscnt 0x0
	s_barrier_signal -1
	s_barrier_wait -1
	global_inv scope:SCOPE_SE
	ds_load_2addr_b32 v[0:1], v139 offset1:243
	s_wait_dscnt 0x0
	v_lshrrev_b32_e32 v2, 16, v1
	v_mul_f16_e32 v3, v4, v1
	s_delay_alu instid0(VALU_DEP_2) | instskip(NEXT) | instid1(VALU_DEP_2)
	v_mul_f16_e32 v9, v4, v2
	v_fma_f16 v10, v123, v2, -v3
	ds_load_b32 v2, v120 offset:25272
	v_lshrrev_b32_e32 v4, 16, v124
	v_fmac_f16_e32 v9, v123, v1
	v_lshrrev_b32_e32 v1, 16, v0
	s_wait_dscnt 0x0
	v_lshrrev_b32_e32 v3, 16, v2
	s_delay_alu instid0(VALU_DEP_1) | instskip(SKIP_1) | instid1(VALU_DEP_2)
	v_mul_f16_e32 v11, v4, v3
	v_mul_f16_e32 v4, v4, v2
	v_fmac_f16_e32 v11, v124, v2
	v_lshrrev_b32_e32 v2, 16, v125
	s_delay_alu instid0(VALU_DEP_3) | instskip(SKIP_1) | instid1(VALU_DEP_3)
	v_fma_f16 v12, v124, v3, -v4
	v_lshrrev_b32_e32 v4, 16, v126
	v_mul_f16_e32 v13, v2, v1
	v_mul_f16_e32 v2, v2, v0
	s_delay_alu instid0(VALU_DEP_2) | instskip(NEXT) | instid1(VALU_DEP_2)
	v_fmac_f16_e32 v13, v125, v0
	v_fma_f16 v14, v125, v1, -v2
	ds_load_2addr_b32 v[0:1], v142 offset0:8 offset1:251
	s_wait_dscnt 0x0
	v_lshrrev_b32_e32 v2, 16, v1
	v_mul_f16_e32 v3, v4, v1
	s_delay_alu instid0(VALU_DEP_2) | instskip(NEXT) | instid1(VALU_DEP_2)
	v_mul_f16_e32 v15, v4, v2
	v_fma_f16 v16, v126, v2, -v3
	v_lshrrev_b32_e32 v2, 16, v0
	s_delay_alu instid0(VALU_DEP_3) | instskip(SKIP_1) | instid1(VALU_DEP_1)
	v_fmac_f16_e32 v15, v126, v1
	v_lshrrev_b32_e32 v1, 16, v128
	v_mul_f16_e32 v17, v1, v2
	v_mul_f16_e32 v3, v1, v0
	s_delay_alu instid0(VALU_DEP_2)
	v_fmac_f16_e64 v17, v128, v0
	ds_load_2addr_b32 v[0:1], v147 offset0:10 offset1:253
	v_fma_f16 v20, v128, v2, -v3
	v_lshrrev_b32_e32 v2, 16, v129
	s_wait_dscnt 0x0
	v_lshrrev_b32_e32 v4, 16, v1
	v_mul_f16_e32 v5, v6, v1
	s_delay_alu instid0(VALU_DEP_2) | instskip(NEXT) | instid1(VALU_DEP_2)
	v_mul_f16_e32 v18, v6, v4
	v_fma_f16 v19, v127, v4, -v5
	v_lshrrev_b32_e32 v4, 16, v130
	v_lshrrev_b32_e32 v6, 16, v131
	s_delay_alu instid0(VALU_DEP_4) | instskip(SKIP_1) | instid1(VALU_DEP_1)
	v_fmac_f16_e32 v18, v127, v1
	v_lshrrev_b32_e32 v1, 16, v0
	v_mul_f16_e32 v21, v2, v1
	v_mul_f16_e32 v2, v2, v0
	s_delay_alu instid0(VALU_DEP_2) | instskip(NEXT) | instid1(VALU_DEP_2)
	v_fmac_f16_e64 v21, v129, v0
	v_fma_f16 v123, v129, v1, -v2
	ds_load_2addr_b32 v[0:1], v158 offset0:2 offset1:245
	s_wait_dscnt 0x0
	v_lshrrev_b32_e32 v2, 16, v1
	v_mul_f16_e32 v3, v4, v1
	s_delay_alu instid0(VALU_DEP_2) | instskip(NEXT) | instid1(VALU_DEP_2)
	v_mul_f16_e32 v124, v4, v2
	v_fma_f16 v125, v130, v2, -v3
	v_lshrrev_b32_e32 v2, 16, v0
	s_delay_alu instid0(VALU_DEP_3) | instskip(SKIP_1) | instid1(VALU_DEP_1)
	v_fmac_f16_e64 v124, v130, v1
	v_lshrrev_b32_e32 v1, 16, v132
	v_mul_f16_e32 v126, v1, v2
	v_mul_f16_e32 v3, v1, v0
	s_delay_alu instid0(VALU_DEP_2)
	v_fmac_f16_e64 v126, v132, v0
	ds_load_2addr_b32 v[0:1], v160 offset0:4 offset1:247
	v_fma_f16 v129, v132, v2, -v3
	v_lshrrev_b32_e32 v2, 16, v135
	s_wait_dscnt 0x0
	v_lshrrev_b32_e32 v4, 16, v1
	v_mul_f16_e32 v5, v6, v1
	s_delay_alu instid0(VALU_DEP_2) | instskip(NEXT) | instid1(VALU_DEP_2)
	v_mul_f16_e32 v127, v6, v4
	v_fma_f16 v128, v131, v4, -v5
	v_lshrrev_b32_e32 v4, 16, v136
	v_lshrrev_b32_e32 v6, 16, v137
	s_delay_alu instid0(VALU_DEP_4) | instskip(SKIP_1) | instid1(VALU_DEP_1)
	v_fmac_f16_e64 v127, v131, v1
	v_lshrrev_b32_e32 v1, 16, v0
	v_mul_f16_e64 v130, v2, v1
	v_mul_f16_e32 v2, v2, v0
	s_delay_alu instid0(VALU_DEP_2) | instskip(NEXT) | instid1(VALU_DEP_2)
	v_fmac_f16_e64 v130, v135, v0
	v_fma_f16 v131, v135, v1, -v2
	ds_load_2addr_b32 v[0:1], v179 offset0:12 offset1:255
	s_wait_dscnt 0x0
	v_lshrrev_b32_e32 v2, 16, v1
	v_mul_f16_e32 v3, v4, v1
	s_delay_alu instid0(VALU_DEP_2) | instskip(NEXT) | instid1(VALU_DEP_2)
	v_mul_f16_e64 v132, v4, v2
	v_fma_f16 v135, v136, v2, -v3
	v_lshrrev_b32_e32 v2, 16, v0
	s_delay_alu instid0(VALU_DEP_3) | instskip(SKIP_1) | instid1(VALU_DEP_1)
	v_fmac_f16_e64 v132, v136, v1
	v_lshrrev_b32_e32 v1, 16, v138
	v_mul_f16_e64 v136, v1, v2
	v_mul_f16_e32 v3, v1, v0
	s_delay_alu instid0(VALU_DEP_2)
	v_fmac_f16_e64 v136, v138, v0
	ds_load_2addr_b32 v[0:1], v176 offset0:6 offset1:249
	v_fma_f16 v138, v138, v2, -v3
	v_lshrrev_b32_e32 v2, 16, v254
	s_wait_dscnt 0x0
	v_lshrrev_b32_e32 v4, 16, v1
	v_mul_f16_e32 v5, v6, v1
	s_delay_alu instid0(VALU_DEP_2) | instskip(NEXT) | instid1(VALU_DEP_2)
	v_mul_f16_e64 v168, v6, v4
	v_fma_f16 v169, v137, v4, -v5
	v_lshrrev_b32_e32 v4, 16, v255
	s_delay_alu instid0(VALU_DEP_3) | instskip(SKIP_1) | instid1(VALU_DEP_1)
	v_fmac_f16_e64 v168, v137, v1
	v_lshrrev_b32_e32 v1, 16, v0
	v_mul_f16_e64 v137, v2, v1
	v_mul_f16_e32 v2, v2, v0
	s_delay_alu instid0(VALU_DEP_2) | instskip(NEXT) | instid1(VALU_DEP_2)
	v_fmac_f16_e64 v137, v254, v0
	v_fma_f16 v170, v254, v1, -v2
	ds_load_2addr_b32 v[0:1], v185 offset0:6 offset1:249
	s_wait_dscnt 0x0
	v_lshrrev_b32_e32 v2, 16, v1
	v_mul_f16_e32 v3, v4, v1
	s_delay_alu instid0(VALU_DEP_2) | instskip(NEXT) | instid1(VALU_DEP_2)
	v_mul_f16_e64 v173, v4, v2
	v_fma_f16 v250, v255, v2, -v3
	v_lshrrev_b32_e32 v2, 16, v0
	s_delay_alu instid0(VALU_DEP_3) | instskip(SKIP_1) | instid1(VALU_DEP_1)
	v_fmac_f16_e64 v173, v255, v1
	v_lshrrev_b32_e32 v1, 16, v253
	v_mul_f16_e32 v3, v1, v2
	v_mul_f16_e32 v4, v1, v0
	s_delay_alu instid0(VALU_DEP_2)
	v_fmac_f16_e64 v3, v253, v0
	ds_load_2addr_b32 v[0:1], v186 offset0:8 offset1:251
	v_fma_f16 v4, v253, v2, -v4
	s_wait_dscnt 0x0
	v_lshrrev_b32_e32 v5, 16, v1
	v_mul_f16_e32 v6, v7, v1
	s_delay_alu instid0(VALU_DEP_2) | instskip(NEXT) | instid1(VALU_DEP_2)
	v_mul_f16_e32 v7, v7, v5
	v_fma_f16 v5, v252, v5, -v6
	s_delay_alu instid0(VALU_DEP_2)
	v_fmac_f16_e64 v7, v252, v1
	ds_load_2addr_b32 v[1:2], v120 offset1:243
	v_add_f16_e32 v8, v5, v4
	v_sub_f16_e64 v252, v5, v4
	v_sub_f16_e64 v253, v7, v3
	s_wait_dscnt 0x0
	v_lshrrev_b32_e32 v251, 16, v1
	s_delay_alu instid0(VALU_DEP_1) | instskip(SKIP_2) | instid1(VALU_DEP_3)
	v_add_f16_e64 v6, v251, v5
	v_add_f16_e32 v5, v1, v7
	v_fmac_f16_e64 v251, -0.5, v8
	v_add_f16_e32 v4, v6, v4
	v_add_f16_e32 v6, v7, v3
	s_delay_alu instid0(VALU_DEP_4) | instskip(NEXT) | instid1(VALU_DEP_2)
	v_add_f16_e32 v5, v5, v3
	v_fma_f16 v1, -0.5, v6, v1
	s_delay_alu instid0(VALU_DEP_2) | instskip(SKIP_2) | instid1(VALU_DEP_4)
	v_pack_b32_f16 v254, v5, v4
	v_fma_f16 v4, 0x3aee, v253, v251
	v_fmac_f16_e64 v251, 0xbaee, v253
	v_fma_f16 v3, 0xbaee, v252, v1
	v_fmac_f16_e64 v1, 0x3aee, v252
	v_add_f16_e64 v252, v2, v137
	s_delay_alu instid0(VALU_DEP_3)
	v_pack_b32_f16 v255, v3, v4
	ds_load_2addr_b32 v[3:4], v171 offset0:6 offset1:249
	ds_load_2addr_b32 v[5:6], v157 offset0:12 offset1:255
	;; [unrolled: 1-line block ×3, first 2 shown]
	global_wb scope:SCOPE_SE
	s_wait_dscnt 0x0
	s_barrier_signal -1
	s_barrier_wait -1
	global_inv scope:SCOPE_SE
	scratch_load_b32 v22, off, off offset:244 th:TH_LOAD_LU ; 4-byte Folded Reload
	v_pack_b32_f16 v1, v1, v251
	v_lshrrev_b32_e32 v251, 16, v2
	s_wait_loadcnt 0x0
	ds_store_b32 v22, v1 offset:24
	ds_store_2addr_b32 v22, v254, v255 offset1:3
	scratch_load_b32 v22, off, off offset:252 th:TH_LOAD_LU ; 4-byte Folded Reload
	v_add_f16_e64 v1, v137, v173
	s_delay_alu instid0(VALU_DEP_1) | instskip(SKIP_1) | instid1(VALU_DEP_1)
	v_fmac_f16_e32 v2, -0.5, v1
	v_sub_f16_e64 v1, v170, v250
	v_fma_f16 v253, 0xbaee, v1, v2
	v_fmac_f16_e32 v2, 0x3aee, v1
	v_add_f16_e64 v1, v170, v250
	v_add_f16_e64 v170, v251, v170
	s_delay_alu instid0(VALU_DEP_2) | instskip(SKIP_1) | instid1(VALU_DEP_3)
	v_fmac_f16_e64 v251, -0.5, v1
	v_sub_f16_e64 v1, v137, v173
	v_add_f16_e64 v170, v170, v250
	s_delay_alu instid0(VALU_DEP_2) | instskip(SKIP_1) | instid1(VALU_DEP_2)
	v_fma_f16 v137, 0x3aee, v1, v251
	v_fmac_f16_e64 v251, 0xbaee, v1
	v_pack_b32_f16 v137, v253, v137
	s_delay_alu instid0(VALU_DEP_2) | instskip(SKIP_1) | instid1(VALU_DEP_1)
	v_pack_b32_f16 v1, v2, v251
	v_add_f16_e64 v2, v252, v173
	v_pack_b32_f16 v2, v2, v170
	s_wait_loadcnt 0x0
	ds_store_2addr_b32 v22, v2, v137 offset1:3
	ds_store_b32 v22, v1 offset:24
	scratch_load_b32 v22, off, off offset:248 th:TH_LOAD_LU ; 4-byte Folded Reload
	v_lshrrev_b32_e32 v1, 16, v3
	v_add_f16_e64 v137, v169, v138
	s_delay_alu instid0(VALU_DEP_2) | instskip(SKIP_1) | instid1(VALU_DEP_3)
	v_add_f16_e64 v2, v1, v169
	v_sub_f16_e64 v169, v169, v138
	v_fmac_f16_e64 v1, -0.5, v137
	v_add_f16_e64 v137, v3, v168
	s_delay_alu instid0(VALU_DEP_4) | instskip(SKIP_1) | instid1(VALU_DEP_3)
	v_add_f16_e64 v2, v2, v138
	v_add_f16_e64 v138, v168, v136
	;; [unrolled: 1-line block ×3, first 2 shown]
	v_sub_f16_e64 v136, v168, v136
	s_delay_alu instid0(VALU_DEP_3) | instskip(NEXT) | instid1(VALU_DEP_3)
	v_fma_f16 v3, -0.5, v138, v3
	v_pack_b32_f16 v2, v137, v2
	s_delay_alu instid0(VALU_DEP_3) | instskip(SKIP_1) | instid1(VALU_DEP_4)
	v_fma_f16 v138, 0x3aee, v136, v1
	v_fmac_f16_e64 v1, 0xbaee, v136
	v_fma_f16 v137, 0xbaee, v169, v3
	v_fmac_f16_e64 v3, 0x3aee, v169
	s_delay_alu instid0(VALU_DEP_2) | instskip(NEXT) | instid1(VALU_DEP_2)
	v_pack_b32_f16 v137, v137, v138
	v_pack_b32_f16 v1, v3, v1
	v_add_f16_e64 v3, v4, v130
	s_wait_loadcnt 0x0
	ds_store_b32 v22, v1 offset:24
	v_add_f16_e64 v1, v130, v132
	ds_store_2addr_b32 v22, v2, v137 offset1:3
	v_lshrrev_b32_e32 v2, 16, v4
	v_fmac_f16_e32 v4, -0.5, v1
	v_sub_f16_e64 v1, v131, v135
	s_delay_alu instid0(VALU_DEP_1) | instskip(SKIP_3) | instid1(VALU_DEP_2)
	v_fma_f16 v136, 0xbaee, v1, v4
	v_fmac_f16_e32 v4, 0x3aee, v1
	v_add_f16_e64 v1, v131, v135
	v_add_f16_e64 v131, v2, v131
	v_fmac_f16_e32 v2, -0.5, v1
	v_sub_f16_e64 v1, v130, v132
	s_delay_alu instid0(VALU_DEP_1) | instskip(SKIP_1) | instid1(VALU_DEP_1)
	v_fma_f16 v130, 0x3aee, v1, v2
	v_fmac_f16_e32 v2, 0xbaee, v1
	v_pack_b32_f16 v1, v4, v2
	scratch_load_b32 v4, off, off offset:256 th:TH_LOAD_LU ; 4-byte Folded Reload
	v_add_f16_e64 v2, v3, v132
	v_add_f16_e64 v3, v131, v135
	s_delay_alu instid0(VALU_DEP_1)
	v_pack_b32_f16 v2, v2, v3
	v_pack_b32_f16 v3, v136, v130
	s_wait_loadcnt 0x0
	ds_store_2addr_b32 v4, v2, v3 offset1:3
	ds_store_b32 v4, v1 offset:24
	scratch_load_b32 v22, off, off offset:260 th:TH_LOAD_LU ; 4-byte Folded Reload
	v_lshrrev_b32_e32 v1, 16, v5
	v_add_f16_e64 v3, v128, v129
	v_sub_f16_e64 v4, v128, v129
	s_delay_alu instid0(VALU_DEP_3) | instskip(NEXT) | instid1(VALU_DEP_3)
	v_add_f16_e64 v2, v1, v128
	v_fmac_f16_e32 v1, -0.5, v3
	v_add_f16_e32 v3, v5, v127
	v_add_f16_e64 v128, v127, v126
	s_delay_alu instid0(VALU_DEP_4) | instskip(NEXT) | instid1(VALU_DEP_3)
	v_add_f16_e64 v2, v2, v129
	v_add_f16_e32 v3, v3, v126
	v_sub_f16_e32 v126, v127, v126
	s_delay_alu instid0(VALU_DEP_2) | instskip(SKIP_1) | instid1(VALU_DEP_3)
	v_pack_b32_f16 v2, v3, v2
	v_fma_f16 v3, -0.5, v128, v5
	v_fmamk_f16 v127, v126, 0x3aee, v1
	v_fmac_f16_e32 v1, 0xbaee, v126
	s_delay_alu instid0(VALU_DEP_3) | instskip(SKIP_1) | instid1(VALU_DEP_2)
	v_fmamk_f16 v5, v4, 0xbaee, v3
	v_fmac_f16_e32 v3, 0x3aee, v4
	v_pack_b32_f16 v5, v5, v127
	s_delay_alu instid0(VALU_DEP_2)
	v_pack_b32_f16 v1, v3, v1
	v_add_f16_e32 v3, v6, v21
	s_wait_loadcnt 0x0
	ds_store_b32 v22, v1 offset:24
	v_add_f16_e32 v1, v21, v124
	ds_store_2addr_b32 v22, v2, v5 offset1:3
	v_lshrrev_b32_e32 v2, 16, v6
	v_fmac_f16_e32 v6, -0.5, v1
	v_sub_f16_e32 v1, v123, v125
	s_delay_alu instid0(VALU_DEP_3) | instskip(NEXT) | instid1(VALU_DEP_2)
	v_add_f16_e32 v5, v2, v123
	v_fmamk_f16 v4, v1, 0xbaee, v6
	v_fmac_f16_e32 v6, 0x3aee, v1
	v_add_f16_e32 v1, v123, v125
	s_delay_alu instid0(VALU_DEP_1) | instskip(SKIP_1) | instid1(VALU_DEP_1)
	v_fmac_f16_e32 v2, -0.5, v1
	v_sub_f16_e32 v1, v21, v124
	v_fmamk_f16 v21, v1, 0x3aee, v2
	v_fmac_f16_e32 v2, 0xbaee, v1
	s_delay_alu instid0(VALU_DEP_1) | instskip(SKIP_4) | instid1(VALU_DEP_3)
	v_pack_b32_f16 v1, v6, v2
	v_add_f16_e32 v2, v3, v124
	v_add_f16_e32 v3, v5, v125
	v_add_f16_e32 v5, v18, v17
	v_sub_f16_e32 v6, v18, v17
	v_pack_b32_f16 v2, v2, v3
	v_pack_b32_f16 v3, v4, v21
	scratch_load_b32 v4, off, off offset:264 th:TH_LOAD_LU ; 4-byte Folded Reload
	s_wait_loadcnt 0x0
	ds_store_2addr_b32 v4, v2, v3 offset1:3
	ds_store_b32 v4, v1 offset:24
	v_lshrrev_b32_e32 v1, 16, v7
	v_add_f16_e32 v3, v19, v20
	v_sub_f16_e32 v4, v19, v20
	s_delay_alu instid0(VALU_DEP_3) | instskip(NEXT) | instid1(VALU_DEP_3)
	v_add_f16_e32 v2, v1, v19
	v_fmac_f16_e32 v1, -0.5, v3
	v_add_f16_e32 v3, v7, v18
	s_delay_alu instid0(VALU_DEP_3) | instskip(NEXT) | instid1(VALU_DEP_2)
	v_add_f16_e32 v2, v2, v20
	v_add_f16_e32 v3, v3, v17
	s_delay_alu instid0(VALU_DEP_1) | instskip(SKIP_3) | instid1(VALU_DEP_3)
	v_pack_b32_f16 v2, v3, v2
	v_fma_f16 v3, -0.5, v5, v7
	v_fmamk_f16 v7, v6, 0x3aee, v1
	v_fmac_f16_e32 v1, 0xbaee, v6
	v_fmamk_f16 v5, v4, 0xbaee, v3
	v_fmac_f16_e32 v3, 0x3aee, v4
	s_delay_alu instid0(VALU_DEP_2)
	v_pack_b32_f16 v5, v5, v7
	scratch_load_b32 v7, off, off offset:268 th:TH_LOAD_LU ; 4-byte Folded Reload
	v_pack_b32_f16 v1, v3, v1
	v_add_f16_e32 v3, v8, v13
	s_wait_loadcnt 0x0
	ds_store_b32 v7, v1 offset:24
	v_add_f16_e32 v1, v13, v15
	ds_store_2addr_b32 v7, v2, v5 offset1:3
	v_lshrrev_b32_e32 v2, 16, v8
	v_lshrrev_b32_e32 v7, 16, v133
	v_fmac_f16_e32 v8, -0.5, v1
	v_sub_f16_e32 v1, v14, v16
	s_delay_alu instid0(VALU_DEP_4) | instskip(NEXT) | instid1(VALU_DEP_2)
	v_add_f16_e32 v5, v2, v14
	v_fmamk_f16 v4, v1, 0xbaee, v8
	v_fmac_f16_e32 v8, 0x3aee, v1
	v_add_f16_e32 v1, v14, v16
	s_delay_alu instid0(VALU_DEP_1) | instskip(SKIP_1) | instid1(VALU_DEP_1)
	v_fmac_f16_e32 v2, -0.5, v1
	v_sub_f16_e32 v1, v13, v15
	v_fmamk_f16 v6, v1, 0x3aee, v2
	v_fmac_f16_e32 v2, 0xbaee, v1
	s_delay_alu instid0(VALU_DEP_1) | instskip(SKIP_2) | instid1(VALU_DEP_1)
	v_pack_b32_f16 v1, v8, v2
	v_add_f16_e32 v2, v3, v15
	v_add_f16_e32 v3, v5, v16
	v_pack_b32_f16 v2, v2, v3
	v_pack_b32_f16 v3, v4, v6
	scratch_load_b32 v4, off, off offset:276 th:TH_LOAD_LU ; 4-byte Folded Reload
	s_wait_loadcnt 0x0
	ds_store_2addr_b32 v4, v2, v3 offset1:3
	ds_store_b32 v4, v1 offset:24
	v_add_f16_e32 v1, v9, v11
	v_lshrrev_b32_e32 v2, 16, v0
	v_add_f16_e32 v3, v0, v9
	s_delay_alu instid0(VALU_DEP_3) | instskip(SKIP_1) | instid1(VALU_DEP_4)
	v_fmac_f16_e32 v0, -0.5, v1
	v_sub_f16_e32 v1, v10, v12
	v_add_f16_e32 v5, v2, v10
	s_delay_alu instid0(VALU_DEP_2) | instskip(SKIP_2) | instid1(VALU_DEP_1)
	v_fmamk_f16 v4, v1, 0xbaee, v0
	v_fmac_f16_e32 v0, 0x3aee, v1
	v_add_f16_e32 v1, v10, v12
	v_fmac_f16_e32 v2, -0.5, v1
	v_sub_f16_e32 v1, v9, v11
	s_delay_alu instid0(VALU_DEP_1)
	v_fmamk_f16 v6, v1, 0x3aee, v2
	v_fmac_f16_e32 v2, 0xbaee, v1
	v_add_f16_e32 v1, v3, v11
	scratch_load_b32 v3, off, off offset:272 th:TH_LOAD_LU ; 4-byte Folded Reload
	v_pack_b32_f16 v0, v0, v2
	v_add_f16_e32 v2, v5, v12
	s_delay_alu instid0(VALU_DEP_1)
	v_pack_b32_f16 v1, v1, v2
	v_pack_b32_f16 v2, v4, v6
	s_wait_loadcnt 0x0
	ds_store_2addr_b32 v3, v1, v2 offset1:3
	ds_store_b32 v3, v0 offset:24
	global_wb scope:SCOPE_SE
	s_wait_dscnt 0x0
	s_barrier_signal -1
	s_barrier_wait -1
	global_inv scope:SCOPE_SE
	ds_load_2addr_b32 v[0:1], v139 offset1:243
	v_lshrrev_b32_e32 v6, 16, v32
	s_wait_dscnt 0x0
	v_lshrrev_b32_e32 v2, 16, v1
	v_mul_f16_e64 v3, v175, v1
	s_delay_alu instid0(VALU_DEP_2) | instskip(NEXT) | instid1(VALU_DEP_2)
	v_mul_f16_e64 v9, v175, v2
	v_fma_f16 v10, v36, v2, -v3
	ds_load_b32 v2, v120 offset:25272
	v_fmac_f16_e32 v9, v36, v1
	v_lshrrev_b32_e32 v1, 16, v0
	s_wait_dscnt 0x0
	v_lshrrev_b32_e32 v3, 16, v2
	v_mul_f16_e64 v4, v184, v2
	s_delay_alu instid0(VALU_DEP_2) | instskip(NEXT) | instid1(VALU_DEP_2)
	v_mul_f16_e64 v11, v184, v3
	v_fma_f16 v12, v37, v3, -v4
	v_lshrrev_b32_e32 v4, 16, v35
	s_delay_alu instid0(VALU_DEP_3) | instskip(SKIP_1) | instid1(VALU_DEP_1)
	v_fmac_f16_e32 v11, v37, v2
	v_lshrrev_b32_e32 v2, 16, v34
	v_mul_f16_e32 v13, v2, v1
	v_mul_f16_e32 v2, v2, v0
	s_delay_alu instid0(VALU_DEP_2) | instskip(NEXT) | instid1(VALU_DEP_2)
	v_fmac_f16_e32 v13, v34, v0
	v_fma_f16 v14, v34, v1, -v2
	ds_load_2addr_b32 v[0:1], v142 offset0:8 offset1:251
	s_wait_dscnt 0x0
	v_lshrrev_b32_e32 v2, 16, v1
	v_mul_f16_e32 v3, v4, v1
	s_delay_alu instid0(VALU_DEP_2) | instskip(NEXT) | instid1(VALU_DEP_2)
	v_mul_f16_e32 v15, v4, v2
	v_fma_f16 v16, v35, v2, -v3
	v_lshrrev_b32_e32 v2, 16, v0
	s_delay_alu instid0(VALU_DEP_3) | instskip(SKIP_1) | instid1(VALU_DEP_1)
	v_fmac_f16_e32 v15, v35, v1
	v_lshrrev_b32_e32 v1, 16, v33
	v_mul_f16_e32 v17, v1, v2
	v_mul_f16_e32 v3, v1, v0
	s_delay_alu instid0(VALU_DEP_2)
	v_fmac_f16_e32 v17, v33, v0
	ds_load_2addr_b32 v[0:1], v147 offset0:10 offset1:253
	v_fma_f16 v20, v33, v2, -v3
	v_lshrrev_b32_e32 v2, 16, v30
	s_wait_dscnt 0x0
	v_lshrrev_b32_e32 v4, 16, v1
	v_mul_f16_e32 v5, v6, v1
	s_delay_alu instid0(VALU_DEP_2) | instskip(NEXT) | instid1(VALU_DEP_2)
	v_mul_f16_e32 v18, v6, v4
	v_fma_f16 v19, v32, v4, -v5
	v_lshrrev_b32_e32 v4, 16, v31
	v_lshrrev_b32_e32 v6, 16, v28
	s_delay_alu instid0(VALU_DEP_4) | instskip(SKIP_1) | instid1(VALU_DEP_1)
	v_fmac_f16_e32 v18, v32, v1
	v_lshrrev_b32_e32 v1, 16, v0
	v_mul_f16_e32 v21, v2, v1
	v_mul_f16_e32 v2, v2, v0
	s_delay_alu instid0(VALU_DEP_2) | instskip(NEXT) | instid1(VALU_DEP_2)
	v_fmac_f16_e32 v21, v30, v0
	v_fma_f16 v30, v30, v1, -v2
	ds_load_2addr_b32 v[0:1], v158 offset0:2 offset1:245
	s_wait_dscnt 0x0
	v_lshrrev_b32_e32 v2, 16, v1
	v_mul_f16_e32 v3, v4, v1
	s_delay_alu instid0(VALU_DEP_2) | instskip(NEXT) | instid1(VALU_DEP_2)
	v_mul_f16_e32 v32, v4, v2
	v_fma_f16 v33, v31, v2, -v3
	v_lshrrev_b32_e32 v2, 16, v0
	s_delay_alu instid0(VALU_DEP_3) | instskip(SKIP_1) | instid1(VALU_DEP_1)
	v_fmac_f16_e32 v32, v31, v1
	v_lshrrev_b32_e32 v1, 16, v29
	v_mul_f16_e32 v31, v1, v2
	v_mul_f16_e32 v3, v1, v0
	s_delay_alu instid0(VALU_DEP_2)
	v_fmac_f16_e32 v31, v29, v0
	ds_load_2addr_b32 v[0:1], v160 offset0:4 offset1:247
	v_fma_f16 v29, v29, v2, -v3
	v_lshrrev_b32_e32 v2, 16, v26
	s_wait_dscnt 0x0
	v_lshrrev_b32_e32 v4, 16, v1
	v_mul_f16_e32 v5, v6, v1
	s_delay_alu instid0(VALU_DEP_2) | instskip(NEXT) | instid1(VALU_DEP_2)
	v_mul_f16_e32 v34, v6, v4
	v_fma_f16 v35, v28, v4, -v5
	v_lshrrev_b32_e32 v4, 16, v27
	v_lshrrev_b32_e32 v6, 16, v24
	s_delay_alu instid0(VALU_DEP_4) | instskip(SKIP_1) | instid1(VALU_DEP_1)
	v_fmac_f16_e32 v34, v28, v1
	v_lshrrev_b32_e32 v1, 16, v0
	v_mul_f16_e32 v28, v2, v1
	v_mul_f16_e32 v2, v2, v0
	s_delay_alu instid0(VALU_DEP_2) | instskip(NEXT) | instid1(VALU_DEP_2)
	v_fmac_f16_e32 v28, v26, v0
	v_fma_f16 v26, v26, v1, -v2
	ds_load_2addr_b32 v[0:1], v179 offset0:12 offset1:255
	s_wait_dscnt 0x0
	v_lshrrev_b32_e32 v2, 16, v1
	v_mul_f16_e32 v3, v4, v1
	s_delay_alu instid0(VALU_DEP_2) | instskip(NEXT) | instid1(VALU_DEP_2)
	v_mul_f16_e32 v36, v4, v2
	v_fma_f16 v37, v27, v2, -v3
	v_lshrrev_b32_e32 v2, 16, v0
	s_delay_alu instid0(VALU_DEP_3) | instskip(SKIP_1) | instid1(VALU_DEP_1)
	v_fmac_f16_e32 v36, v27, v1
	v_lshrrev_b32_e32 v1, 16, v25
	v_mul_f16_e32 v27, v1, v2
	v_mul_f16_e32 v3, v1, v0
	s_delay_alu instid0(VALU_DEP_2)
	v_fmac_f16_e32 v27, v25, v0
	ds_load_2addr_b32 v[0:1], v176 offset0:6 offset1:249
	v_fma_f16 v25, v25, v2, -v3
	v_lshrrev_b32_e32 v2, 16, v121
	s_wait_dscnt 0x0
	v_lshrrev_b32_e32 v4, 16, v1
	v_mul_f16_e32 v5, v6, v1
	s_delay_alu instid0(VALU_DEP_2) | instskip(NEXT) | instid1(VALU_DEP_2)
	v_mul_f16_e32 v123, v6, v4
	v_fma_f16 v124, v24, v4, -v5
	v_lshrrev_b32_e32 v4, 16, v122
	s_delay_alu instid0(VALU_DEP_3) | instskip(SKIP_1) | instid1(VALU_DEP_1)
	v_fmac_f16_e32 v123, v24, v1
	v_lshrrev_b32_e32 v1, 16, v0
	v_mul_f16_e32 v24, v2, v1
	v_mul_f16_e32 v2, v2, v0
	s_delay_alu instid0(VALU_DEP_2) | instskip(NEXT) | instid1(VALU_DEP_2)
	v_fmac_f16_e32 v24, v121, v0
	v_fma_f16 v22, v121, v1, -v2
	ds_load_2addr_b32 v[0:1], v185 offset0:6 offset1:249
	s_wait_dscnt 0x0
	v_lshrrev_b32_e32 v2, 16, v1
	v_mul_f16_e32 v3, v4, v1
	s_delay_alu instid0(VALU_DEP_2) | instskip(NEXT) | instid1(VALU_DEP_2)
	v_mul_f16_e32 v125, v4, v2
	v_fma_f16 v126, v122, v2, -v3
	v_lshrrev_b32_e32 v2, 16, v0
	s_delay_alu instid0(VALU_DEP_3) | instskip(SKIP_1) | instid1(VALU_DEP_1)
	v_fmac_f16_e32 v125, v122, v1
	v_lshrrev_b32_e32 v1, 16, v134
	v_mul_f16_e32 v3, v1, v2
	v_mul_f16_e32 v4, v1, v0
	s_delay_alu instid0(VALU_DEP_2)
	v_fmac_f16_e64 v3, v134, v0
	ds_load_2addr_b32 v[0:1], v186 offset0:8 offset1:251
	v_fma_f16 v4, v134, v2, -v4
	s_wait_dscnt 0x0
	v_lshrrev_b32_e32 v5, 16, v1
	v_mul_f16_e32 v6, v7, v1
	s_delay_alu instid0(VALU_DEP_2) | instskip(NEXT) | instid1(VALU_DEP_2)
	v_mul_f16_e32 v7, v7, v5
	v_fma_f16 v5, v133, v5, -v6
	s_delay_alu instid0(VALU_DEP_2)
	v_fmac_f16_e64 v7, v133, v1
	ds_load_2addr_b32 v[1:2], v120 offset1:243
	v_add_f16_e32 v8, v5, v4
	v_sub_f16_e32 v121, v5, v4
	v_sub_f16_e32 v122, v7, v3
	s_wait_dscnt 0x0
	v_lshrrev_b32_e32 v23, 16, v1
	s_delay_alu instid0(VALU_DEP_1) | instskip(SKIP_2) | instid1(VALU_DEP_3)
	v_add_f16_e32 v6, v23, v5
	v_add_f16_e32 v5, v1, v7
	v_fmac_f16_e32 v23, -0.5, v8
	v_add_f16_e32 v4, v6, v4
	v_add_f16_e32 v6, v7, v3
	s_delay_alu instid0(VALU_DEP_4) | instskip(NEXT) | instid1(VALU_DEP_2)
	v_add_f16_e32 v5, v5, v3
	v_fma_f16 v1, -0.5, v6, v1
	s_delay_alu instid0(VALU_DEP_2) | instskip(SKIP_2) | instid1(VALU_DEP_4)
	v_pack_b32_f16 v127, v5, v4
	v_fmamk_f16 v4, v122, 0x3aee, v23
	v_fmac_f16_e32 v23, 0xbaee, v122
	v_fmamk_f16 v3, v121, 0xbaee, v1
	v_fmac_f16_e32 v1, 0x3aee, v121
	v_add_f16_e32 v121, v2, v24
	s_delay_alu instid0(VALU_DEP_3)
	v_pack_b32_f16 v128, v3, v4
	ds_load_2addr_b32 v[3:4], v171 offset0:6 offset1:249
	ds_load_2addr_b32 v[5:6], v157 offset0:12 offset1:255
	;; [unrolled: 1-line block ×3, first 2 shown]
	global_wb scope:SCOPE_SE
	s_wait_dscnt 0x0
	s_barrier_signal -1
	s_barrier_wait -1
	global_inv scope:SCOPE_SE
	scratch_load_b32 v129, off, off offset:280 th:TH_LOAD_LU ; 4-byte Folded Reload
	v_pack_b32_f16 v1, v1, v23
	v_lshrrev_b32_e32 v23, 16, v2
	s_wait_loadcnt 0x0
	ds_store_b32 v129, v1 offset:72
	v_add_f16_e32 v1, v24, v125
	ds_store_2addr_b32 v129, v127, v128 offset1:9
	v_fmac_f16_e32 v2, -0.5, v1
	v_sub_f16_e32 v1, v22, v126
	s_delay_alu instid0(VALU_DEP_1) | instskip(SKIP_3) | instid1(VALU_DEP_2)
	v_fmamk_f16 v122, v1, 0xbaee, v2
	v_fmac_f16_e32 v2, 0x3aee, v1
	v_add_f16_e32 v1, v22, v126
	v_add_f16_e32 v22, v23, v22
	v_fmac_f16_e32 v23, -0.5, v1
	v_sub_f16_e32 v1, v24, v125
	s_delay_alu instid0(VALU_DEP_3) | instskip(NEXT) | instid1(VALU_DEP_2)
	v_add_f16_e32 v22, v22, v126
	v_fmamk_f16 v24, v1, 0x3aee, v23
	v_fmac_f16_e32 v23, 0xbaee, v1
	s_delay_alu instid0(VALU_DEP_1) | instskip(SKIP_2) | instid1(VALU_DEP_1)
	v_pack_b32_f16 v1, v2, v23
	scratch_load_b32 v23, off, off offset:284 th:TH_LOAD_LU ; 4-byte Folded Reload
	v_add_f16_e32 v2, v121, v125
	v_pack_b32_f16 v2, v2, v22
	v_pack_b32_f16 v22, v122, v24
	s_wait_loadcnt 0x0
	ds_store_2addr_b32 v23, v2, v22 offset1:9
	ds_store_b32 v23, v1 offset:72
	v_lshrrev_b32_e32 v1, 16, v3
	v_add_f16_e32 v22, v124, v25
	v_add_f16_e32 v24, v123, v27
	v_sub_f16_e32 v23, v124, v25
	s_delay_alu instid0(VALU_DEP_4) | instskip(NEXT) | instid1(VALU_DEP_4)
	v_add_f16_e32 v2, v1, v124
	v_fmac_f16_e32 v1, -0.5, v22
	v_add_f16_e32 v22, v3, v123
	v_fma_f16 v3, -0.5, v24, v3
	s_delay_alu instid0(VALU_DEP_4) | instskip(SKIP_1) | instid1(VALU_DEP_4)
	v_add_f16_e32 v2, v2, v25
	v_sub_f16_e32 v25, v123, v27
	v_add_f16_e32 v22, v22, v27
	s_delay_alu instid0(VALU_DEP_2) | instskip(NEXT) | instid1(VALU_DEP_2)
	v_fmamk_f16 v24, v25, 0x3aee, v1
	v_pack_b32_f16 v2, v22, v2
	v_fmamk_f16 v22, v23, 0xbaee, v3
	v_fmac_f16_e32 v3, 0x3aee, v23
	v_fmac_f16_e32 v1, 0xbaee, v25
	s_delay_alu instid0(VALU_DEP_3)
	v_pack_b32_f16 v22, v22, v24
	scratch_load_b32 v24, off, off offset:288 th:TH_LOAD_LU ; 4-byte Folded Reload
	v_pack_b32_f16 v1, v3, v1
	v_add_f16_e32 v3, v4, v28
	s_wait_loadcnt 0x0
	ds_store_b32 v24, v1 offset:72
	v_add_f16_e32 v1, v28, v36
	ds_store_2addr_b32 v24, v2, v22 offset1:9
	v_lshrrev_b32_e32 v2, 16, v4
	v_fmac_f16_e32 v4, -0.5, v1
	v_sub_f16_e32 v1, v26, v37
	s_delay_alu instid0(VALU_DEP_3) | instskip(NEXT) | instid1(VALU_DEP_2)
	v_add_f16_e32 v23, v2, v26
	v_fmamk_f16 v22, v1, 0xbaee, v4
	v_fmac_f16_e32 v4, 0x3aee, v1
	v_add_f16_e32 v1, v26, v37
	s_delay_alu instid0(VALU_DEP_1) | instskip(SKIP_1) | instid1(VALU_DEP_1)
	v_fmac_f16_e32 v2, -0.5, v1
	v_sub_f16_e32 v1, v28, v36
	v_fmamk_f16 v24, v1, 0x3aee, v2
	v_fmac_f16_e32 v2, 0xbaee, v1
	s_delay_alu instid0(VALU_DEP_1) | instskip(SKIP_4) | instid1(VALU_DEP_2)
	v_pack_b32_f16 v1, v4, v2
	scratch_load_b32 v4, off, off offset:292 th:TH_LOAD_LU ; 4-byte Folded Reload
	v_add_f16_e32 v2, v3, v36
	v_add_f16_e32 v3, v23, v37
	v_sub_f16_e32 v23, v34, v31
	v_pack_b32_f16 v2, v2, v3
	v_pack_b32_f16 v3, v22, v24
	s_wait_loadcnt 0x0
	ds_store_2addr_b32 v4, v2, v3 offset1:9
	ds_store_b32 v4, v1 offset:72
	v_lshrrev_b32_e32 v1, 16, v5
	v_add_f16_e32 v3, v35, v29
	v_add_f16_e32 v22, v34, v31
	v_sub_f16_e32 v4, v35, v29
	s_delay_alu instid0(VALU_DEP_4) | instskip(NEXT) | instid1(VALU_DEP_4)
	v_add_f16_e32 v2, v1, v35
	v_fmac_f16_e32 v1, -0.5, v3
	v_add_f16_e32 v3, v5, v34
	s_delay_alu instid0(VALU_DEP_3) | instskip(NEXT) | instid1(VALU_DEP_2)
	v_add_f16_e32 v2, v2, v29
	v_add_f16_e32 v3, v3, v31
	s_delay_alu instid0(VALU_DEP_1) | instskip(SKIP_3) | instid1(VALU_DEP_3)
	v_pack_b32_f16 v2, v3, v2
	v_fma_f16 v3, -0.5, v22, v5
	v_fmamk_f16 v22, v23, 0x3aee, v1
	v_fmac_f16_e32 v1, 0xbaee, v23
	v_fmamk_f16 v5, v4, 0xbaee, v3
	v_fmac_f16_e32 v3, 0x3aee, v4
	s_delay_alu instid0(VALU_DEP_2)
	v_pack_b32_f16 v5, v5, v22
	scratch_load_b32 v22, off, off offset:296 th:TH_LOAD_LU ; 4-byte Folded Reload
	v_pack_b32_f16 v1, v3, v1
	v_add_f16_e32 v3, v6, v21
	s_wait_loadcnt 0x0
	ds_store_b32 v22, v1 offset:72
	v_add_f16_e32 v1, v21, v32
	ds_store_2addr_b32 v22, v2, v5 offset1:9
	v_lshrrev_b32_e32 v2, 16, v6
	v_fmac_f16_e32 v6, -0.5, v1
	v_sub_f16_e32 v1, v30, v33
	s_delay_alu instid0(VALU_DEP_3) | instskip(NEXT) | instid1(VALU_DEP_2)
	v_add_f16_e32 v5, v2, v30
	v_fmamk_f16 v4, v1, 0xbaee, v6
	v_fmac_f16_e32 v6, 0x3aee, v1
	v_add_f16_e32 v1, v30, v33
	s_delay_alu instid0(VALU_DEP_1) | instskip(SKIP_1) | instid1(VALU_DEP_1)
	v_fmac_f16_e32 v2, -0.5, v1
	v_sub_f16_e32 v1, v21, v32
	v_fmamk_f16 v21, v1, 0x3aee, v2
	v_fmac_f16_e32 v2, 0xbaee, v1
	s_delay_alu instid0(VALU_DEP_1) | instskip(SKIP_4) | instid1(VALU_DEP_3)
	v_pack_b32_f16 v1, v6, v2
	v_add_f16_e32 v2, v3, v32
	v_add_f16_e32 v3, v5, v33
	;; [unrolled: 1-line block ×3, first 2 shown]
	v_sub_f16_e32 v6, v18, v17
	v_pack_b32_f16 v2, v2, v3
	v_pack_b32_f16 v3, v4, v21
	scratch_load_b32 v4, off, off offset:300 th:TH_LOAD_LU ; 4-byte Folded Reload
	s_wait_loadcnt 0x0
	ds_store_2addr_b32 v4, v2, v3 offset1:9
	ds_store_b32 v4, v1 offset:72
	v_lshrrev_b32_e32 v1, 16, v7
	v_add_f16_e32 v3, v19, v20
	v_sub_f16_e32 v4, v19, v20
	s_delay_alu instid0(VALU_DEP_3) | instskip(NEXT) | instid1(VALU_DEP_3)
	v_add_f16_e32 v2, v1, v19
	v_fmac_f16_e32 v1, -0.5, v3
	v_add_f16_e32 v3, v7, v18
	s_delay_alu instid0(VALU_DEP_3) | instskip(NEXT) | instid1(VALU_DEP_2)
	v_add_f16_e32 v2, v2, v20
	v_add_f16_e32 v3, v3, v17
	s_delay_alu instid0(VALU_DEP_1) | instskip(SKIP_3) | instid1(VALU_DEP_3)
	v_pack_b32_f16 v2, v3, v2
	v_fma_f16 v3, -0.5, v5, v7
	v_fmamk_f16 v7, v6, 0x3aee, v1
	v_fmac_f16_e32 v1, 0xbaee, v6
	v_fmamk_f16 v5, v4, 0xbaee, v3
	v_fmac_f16_e32 v3, 0x3aee, v4
	s_delay_alu instid0(VALU_DEP_2)
	v_pack_b32_f16 v5, v5, v7
	scratch_load_b32 v7, off, off offset:304 th:TH_LOAD_LU ; 4-byte Folded Reload
	v_pack_b32_f16 v1, v3, v1
	v_add_f16_e32 v3, v8, v13
	s_wait_loadcnt 0x0
	ds_store_b32 v7, v1 offset:72
	v_add_f16_e32 v1, v13, v15
	ds_store_2addr_b32 v7, v2, v5 offset1:9
	v_lshrrev_b32_e32 v2, 16, v8
	v_lshrrev_b32_e32 v7, 16, v38
	v_fmac_f16_e32 v8, -0.5, v1
	v_sub_f16_e32 v1, v14, v16
	s_delay_alu instid0(VALU_DEP_4) | instskip(NEXT) | instid1(VALU_DEP_2)
	v_add_f16_e32 v5, v2, v14
	v_fmamk_f16 v4, v1, 0xbaee, v8
	v_fmac_f16_e32 v8, 0x3aee, v1
	v_add_f16_e32 v1, v14, v16
	s_delay_alu instid0(VALU_DEP_1) | instskip(SKIP_1) | instid1(VALU_DEP_1)
	v_fmac_f16_e32 v2, -0.5, v1
	v_sub_f16_e32 v1, v13, v15
	v_fmamk_f16 v6, v1, 0x3aee, v2
	v_fmac_f16_e32 v2, 0xbaee, v1
	s_delay_alu instid0(VALU_DEP_1) | instskip(SKIP_2) | instid1(VALU_DEP_1)
	v_pack_b32_f16 v1, v8, v2
	v_add_f16_e32 v2, v3, v15
	v_add_f16_e32 v3, v5, v16
	v_pack_b32_f16 v2, v2, v3
	v_pack_b32_f16 v3, v4, v6
	scratch_load_b32 v4, off, off offset:312 th:TH_LOAD_LU ; 4-byte Folded Reload
	s_wait_loadcnt 0x0
	ds_store_2addr_b32 v4, v2, v3 offset1:9
	ds_store_b32 v4, v1 offset:72
	v_add_f16_e32 v1, v9, v11
	v_lshrrev_b32_e32 v2, 16, v0
	v_add_f16_e32 v3, v0, v9
	s_delay_alu instid0(VALU_DEP_3) | instskip(SKIP_1) | instid1(VALU_DEP_4)
	v_fmac_f16_e32 v0, -0.5, v1
	v_sub_f16_e32 v1, v10, v12
	v_add_f16_e32 v5, v2, v10
	s_delay_alu instid0(VALU_DEP_2) | instskip(SKIP_2) | instid1(VALU_DEP_1)
	v_fmamk_f16 v4, v1, 0xbaee, v0
	v_fmac_f16_e32 v0, 0x3aee, v1
	v_add_f16_e32 v1, v10, v12
	v_fmac_f16_e32 v2, -0.5, v1
	v_sub_f16_e32 v1, v9, v11
	s_delay_alu instid0(VALU_DEP_1)
	v_fmamk_f16 v6, v1, 0x3aee, v2
	v_fmac_f16_e32 v2, 0xbaee, v1
	v_add_f16_e32 v1, v3, v11
	scratch_load_b32 v3, off, off offset:308 th:TH_LOAD_LU ; 4-byte Folded Reload
	v_pack_b32_f16 v0, v0, v2
	v_add_f16_e32 v2, v5, v12
	s_delay_alu instid0(VALU_DEP_1)
	v_pack_b32_f16 v1, v1, v2
	v_pack_b32_f16 v2, v4, v6
	s_wait_loadcnt 0x0
	ds_store_2addr_b32 v3, v1, v2 offset1:9
	ds_store_b32 v3, v0 offset:72
	global_wb scope:SCOPE_SE
	s_wait_dscnt 0x0
	s_barrier_signal -1
	s_barrier_wait -1
	global_inv scope:SCOPE_SE
	ds_load_2addr_b32 v[0:1], v139 offset1:243
	s_wait_dscnt 0x0
	v_lshrrev_b32_e32 v2, 16, v1
	v_mul_f16_e64 v3, v199, v1
	s_delay_alu instid0(VALU_DEP_2) | instskip(NEXT) | instid1(VALU_DEP_2)
	v_mul_f16_e64 v9, v199, v2
	v_fma_f16 v10, v54, v2, -v3
	ds_load_b32 v2, v120 offset:25272
	v_fmac_f16_e32 v9, v54, v1
	v_lshrrev_b32_e32 v1, 16, v0
	s_delay_alu instid0(VALU_DEP_1) | instskip(NEXT) | instid1(VALU_DEP_1)
	v_mul_f16_e64 v13, v195, v1
	v_fmac_f16_e32 v13, v52, v0
	s_wait_dscnt 0x0
	v_lshrrev_b32_e32 v3, 16, v2
	v_mul_f16_e64 v4, v198, v2
	s_delay_alu instid0(VALU_DEP_2) | instskip(NEXT) | instid1(VALU_DEP_2)
	v_mul_f16_e64 v11, v198, v3
	v_fma_f16 v12, v55, v3, -v4
	s_delay_alu instid0(VALU_DEP_2) | instskip(SKIP_1) | instid1(VALU_DEP_1)
	v_fmac_f16_e32 v11, v55, v2
	v_mul_f16_e64 v2, v195, v0
	v_fma_f16 v14, v52, v1, -v2
	ds_load_2addr_b32 v[0:1], v142 offset0:8 offset1:251
	s_wait_dscnt 0x0
	v_lshrrev_b32_e32 v2, 16, v1
	v_mul_f16_e64 v3, v194, v1
	s_delay_alu instid0(VALU_DEP_2) | instskip(NEXT) | instid1(VALU_DEP_2)
	v_mul_f16_e64 v15, v194, v2
	v_fma_f16 v16, v53, v2, -v3
	v_lshrrev_b32_e32 v2, 16, v0
	v_mul_f16_e64 v3, v193, v0
	s_delay_alu instid0(VALU_DEP_4) | instskip(NEXT) | instid1(VALU_DEP_3)
	v_fmac_f16_e32 v15, v53, v1
	v_mul_f16_e64 v17, v193, v2
	s_delay_alu instid0(VALU_DEP_3) | instskip(NEXT) | instid1(VALU_DEP_2)
	v_fma_f16 v20, v51, v2, -v3
	v_fmac_f16_e32 v17, v51, v0
	ds_load_2addr_b32 v[0:1], v147 offset0:10 offset1:253
	s_wait_dscnt 0x0
	v_lshrrev_b32_e32 v4, 16, v1
	v_mul_f16_e64 v5, v192, v1
	v_mul_f16_e64 v2, v189, v0
	s_delay_alu instid0(VALU_DEP_3) | instskip(NEXT) | instid1(VALU_DEP_3)
	v_mul_f16_e64 v18, v192, v4
	v_fma_f16 v19, v50, v4, -v5
	s_delay_alu instid0(VALU_DEP_2) | instskip(SKIP_1) | instid1(VALU_DEP_1)
	v_fmac_f16_e32 v18, v50, v1
	v_lshrrev_b32_e32 v1, 16, v0
	v_mul_f16_e64 v21, v189, v1
	v_fma_f16 v22, v48, v1, -v2
	s_delay_alu instid0(VALU_DEP_2) | instskip(SKIP_4) | instid1(VALU_DEP_2)
	v_fmac_f16_e32 v21, v48, v0
	ds_load_2addr_b32 v[0:1], v158 offset0:2 offset1:245
	s_wait_dscnt 0x0
	v_lshrrev_b32_e32 v2, 16, v1
	v_mul_f16_e64 v3, v187, v1
	v_mul_f16_e64 v23, v187, v2
	s_delay_alu instid0(VALU_DEP_2) | instskip(SKIP_2) | instid1(VALU_DEP_4)
	v_fma_f16 v24, v49, v2, -v3
	v_lshrrev_b32_e32 v2, 16, v0
	v_mul_f16_e64 v3, v181, v0
	v_fmac_f16_e32 v23, v49, v1
	s_delay_alu instid0(VALU_DEP_3) | instskip(NEXT) | instid1(VALU_DEP_3)
	v_mul_f16_e64 v25, v181, v2
	v_fma_f16 v28, v47, v2, -v3
	v_lshrrev_b32_e32 v2, 16, v44
	s_delay_alu instid0(VALU_DEP_3) | instskip(SKIP_4) | instid1(VALU_DEP_2)
	v_fmac_f16_e32 v25, v47, v0
	ds_load_2addr_b32 v[0:1], v160 offset0:4 offset1:247
	s_wait_dscnt 0x0
	v_lshrrev_b32_e32 v4, 16, v1
	v_mul_f16_e64 v5, v172, v1
	v_mul_f16_e64 v26, v172, v4
	s_delay_alu instid0(VALU_DEP_2) | instskip(NEXT) | instid1(VALU_DEP_2)
	v_fma_f16 v27, v46, v4, -v5
	v_fmac_f16_e32 v26, v46, v1
	v_lshrrev_b32_e32 v1, 16, v0
	s_delay_alu instid0(VALU_DEP_1) | instskip(SKIP_1) | instid1(VALU_DEP_2)
	v_mul_f16_e32 v29, v2, v1
	v_mul_f16_e32 v2, v2, v0
	v_fmac_f16_e32 v29, v44, v0
	s_delay_alu instid0(VALU_DEP_2) | instskip(SKIP_4) | instid1(VALU_DEP_2)
	v_fma_f16 v30, v44, v1, -v2
	ds_load_2addr_b32 v[0:1], v179 offset0:12 offset1:255
	s_wait_dscnt 0x0
	v_lshrrev_b32_e32 v2, 16, v1
	v_mul_f16_e64 v3, v144, v1
	v_mul_f16_e64 v31, v144, v2
	s_delay_alu instid0(VALU_DEP_2) | instskip(SKIP_2) | instid1(VALU_DEP_4)
	v_fma_f16 v32, v45, v2, -v3
	v_lshrrev_b32_e32 v2, 16, v0
	v_mul_f16_e64 v3, v146, v0
	v_fmac_f16_e32 v31, v45, v1
	s_delay_alu instid0(VALU_DEP_3) | instskip(NEXT) | instid1(VALU_DEP_3)
	v_mul_f16_e64 v33, v146, v2
	v_fma_f16 v36, v43, v2, -v3
	s_delay_alu instid0(VALU_DEP_2)
	v_fmac_f16_e32 v33, v43, v0
	ds_load_2addr_b32 v[0:1], v176 offset0:6 offset1:249
	s_wait_dscnt 0x0
	v_lshrrev_b32_e32 v4, 16, v1
	v_mul_f16_e64 v5, v148, v1
	v_mul_f16_e64 v2, v156, v0
	s_delay_alu instid0(VALU_DEP_3) | instskip(NEXT) | instid1(VALU_DEP_3)
	v_mul_f16_e64 v34, v148, v4
	v_fma_f16 v35, v42, v4, -v5
	s_delay_alu instid0(VALU_DEP_2) | instskip(SKIP_1) | instid1(VALU_DEP_1)
	v_fmac_f16_e32 v34, v42, v1
	v_lshrrev_b32_e32 v1, 16, v0
	v_mul_f16_e64 v37, v156, v1
	s_delay_alu instid0(VALU_DEP_1)
	v_fmac_f16_e32 v37, v40, v0
	v_fma_f16 v40, v40, v1, -v2
	ds_load_2addr_b32 v[0:1], v185 offset0:6 offset1:249
	s_wait_dscnt 0x0
	v_lshrrev_b32_e32 v2, 16, v1
	v_mul_f16_e64 v3, v159, v1
	s_delay_alu instid0(VALU_DEP_2) | instskip(NEXT) | instid1(VALU_DEP_2)
	v_mul_f16_e64 v42, v159, v2
	v_fma_f16 v43, v41, v2, -v3
	v_lshrrev_b32_e32 v2, 16, v0
	s_delay_alu instid0(VALU_DEP_3) | instskip(SKIP_1) | instid1(VALU_DEP_1)
	v_fmac_f16_e32 v42, v41, v1
	v_lshrrev_b32_e32 v1, 16, v39
	v_mul_f16_e32 v3, v1, v2
	v_mul_f16_e32 v4, v1, v0
	s_delay_alu instid0(VALU_DEP_2)
	v_fmac_f16_e32 v3, v39, v0
	ds_load_2addr_b32 v[0:1], v186 offset0:8 offset1:251
	v_fma_f16 v4, v39, v2, -v4
	s_wait_dscnt 0x0
	v_lshrrev_b32_e32 v5, 16, v1
	v_mul_f16_e32 v6, v7, v1
	s_delay_alu instid0(VALU_DEP_2) | instskip(NEXT) | instid1(VALU_DEP_2)
	v_mul_f16_e32 v7, v7, v5
	v_fma_f16 v5, v38, v5, -v6
	s_delay_alu instid0(VALU_DEP_2)
	v_fmac_f16_e32 v7, v38, v1
	ds_load_2addr_b32 v[1:2], v120 offset1:243
	v_add_f16_e32 v8, v5, v4
	v_sub_f16_e32 v39, v5, v4
	v_sub_f16_e32 v41, v7, v3
	s_wait_dscnt 0x0
	v_lshrrev_b32_e32 v38, 16, v1
	s_delay_alu instid0(VALU_DEP_1) | instskip(SKIP_2) | instid1(VALU_DEP_3)
	v_add_f16_e32 v6, v38, v5
	v_add_f16_e32 v5, v1, v7
	v_fmac_f16_e32 v38, -0.5, v8
	v_add_f16_e32 v4, v6, v4
	v_add_f16_e32 v6, v7, v3
	s_delay_alu instid0(VALU_DEP_4) | instskip(NEXT) | instid1(VALU_DEP_2)
	v_add_f16_e32 v5, v5, v3
	v_fma_f16 v1, -0.5, v6, v1
	s_delay_alu instid0(VALU_DEP_2) | instskip(SKIP_2) | instid1(VALU_DEP_4)
	v_pack_b32_f16 v44, v5, v4
	v_fmamk_f16 v4, v41, 0x3aee, v38
	v_fmac_f16_e32 v38, 0xbaee, v41
	v_fmamk_f16 v3, v39, 0xbaee, v1
	v_fmac_f16_e32 v1, 0x3aee, v39
	v_add_f16_e32 v39, v2, v37
	s_delay_alu instid0(VALU_DEP_3)
	v_pack_b32_f16 v45, v3, v4
	ds_load_2addr_b32 v[3:4], v171 offset0:6 offset1:249
	ds_load_2addr_b32 v[5:6], v157 offset0:12 offset1:255
	;; [unrolled: 1-line block ×3, first 2 shown]
	global_wb scope:SCOPE_SE
	s_wait_dscnt 0x0
	s_barrier_signal -1
	s_barrier_wait -1
	global_inv scope:SCOPE_SE
	scratch_load_b32 v46, off, off offset:316 th:TH_LOAD_LU ; 4-byte Folded Reload
	v_pack_b32_f16 v1, v1, v38
	v_lshrrev_b32_e32 v38, 16, v2
	s_wait_loadcnt 0x0
	ds_store_b32 v46, v1 offset:216
	v_add_f16_e32 v1, v37, v42
	ds_store_2addr_b32 v46, v44, v45 offset1:27
	v_fmac_f16_e32 v2, -0.5, v1
	v_sub_f16_e32 v1, v40, v43
	s_delay_alu instid0(VALU_DEP_1) | instskip(SKIP_3) | instid1(VALU_DEP_2)
	v_fmamk_f16 v41, v1, 0xbaee, v2
	v_fmac_f16_e32 v2, 0x3aee, v1
	v_add_f16_e32 v1, v40, v43
	v_add_f16_e32 v40, v38, v40
	v_fmac_f16_e32 v38, -0.5, v1
	v_sub_f16_e32 v1, v37, v42
	s_delay_alu instid0(VALU_DEP_1) | instskip(SKIP_1) | instid1(VALU_DEP_2)
	v_fmamk_f16 v37, v1, 0x3aee, v38
	v_fmac_f16_e32 v38, 0xbaee, v1
	v_pack_b32_f16 v37, v41, v37
	s_delay_alu instid0(VALU_DEP_2) | instskip(SKIP_2) | instid1(VALU_DEP_1)
	v_pack_b32_f16 v1, v2, v38
	v_add_f16_e32 v2, v39, v42
	v_add_f16_e32 v38, v40, v43
	v_pack_b32_f16 v2, v2, v38
	scratch_load_b32 v38, off, off offset:320 th:TH_LOAD_LU ; 4-byte Folded Reload
	s_wait_loadcnt 0x0
	ds_store_2addr_b32 v38, v2, v37 offset1:27
	ds_store_b32 v38, v1 offset:216
	v_lshrrev_b32_e32 v1, 16, v3
	v_add_f16_e32 v37, v35, v36
	s_delay_alu instid0(VALU_DEP_2) | instskip(SKIP_1) | instid1(VALU_DEP_3)
	v_add_f16_e32 v2, v1, v35
	v_sub_f16_e32 v35, v35, v36
	v_fmac_f16_e32 v1, -0.5, v37
	v_add_f16_e32 v37, v34, v33
	s_delay_alu instid0(VALU_DEP_4) | instskip(SKIP_1) | instid1(VALU_DEP_3)
	v_add_f16_e32 v2, v2, v36
	v_add_f16_e32 v36, v3, v34
	v_fma_f16 v3, -0.5, v37, v3
	s_delay_alu instid0(VALU_DEP_2) | instskip(SKIP_1) | instid1(VALU_DEP_3)
	v_add_f16_e32 v36, v36, v33
	v_sub_f16_e32 v33, v34, v33
	v_fmamk_f16 v34, v35, 0xbaee, v3
	v_fmac_f16_e32 v3, 0x3aee, v35
	s_delay_alu instid0(VALU_DEP_4) | instskip(NEXT) | instid1(VALU_DEP_4)
	v_pack_b32_f16 v2, v36, v2
	v_fmamk_f16 v36, v33, 0x3aee, v1
	v_fmac_f16_e32 v1, 0xbaee, v33
	s_delay_alu instid0(VALU_DEP_2)
	v_pack_b32_f16 v34, v34, v36
	scratch_load_b32 v36, off, off offset:324 th:TH_LOAD_LU ; 4-byte Folded Reload
	v_pack_b32_f16 v1, v3, v1
	v_add_f16_e32 v3, v4, v29
	s_wait_loadcnt 0x0
	ds_store_b32 v36, v1 offset:216
	v_add_f16_e32 v1, v29, v31
	ds_store_2addr_b32 v36, v2, v34 offset1:27
	v_lshrrev_b32_e32 v2, 16, v4
	v_fmac_f16_e32 v4, -0.5, v1
	v_sub_f16_e32 v1, v30, v32
	s_delay_alu instid0(VALU_DEP_1) | instskip(SKIP_3) | instid1(VALU_DEP_2)
	v_fmamk_f16 v33, v1, 0xbaee, v4
	v_fmac_f16_e32 v4, 0x3aee, v1
	v_add_f16_e32 v1, v30, v32
	v_add_f16_e32 v30, v2, v30
	v_fmac_f16_e32 v2, -0.5, v1
	v_sub_f16_e32 v1, v29, v31
	s_delay_alu instid0(VALU_DEP_1) | instskip(SKIP_1) | instid1(VALU_DEP_1)
	v_fmamk_f16 v29, v1, 0x3aee, v2
	v_fmac_f16_e32 v2, 0xbaee, v1
	v_pack_b32_f16 v1, v4, v2
	scratch_load_b32 v4, off, off offset:328 th:TH_LOAD_LU ; 4-byte Folded Reload
	v_add_f16_e32 v2, v3, v31
	v_add_f16_e32 v3, v30, v32
	s_delay_alu instid0(VALU_DEP_1)
	v_pack_b32_f16 v2, v2, v3
	v_pack_b32_f16 v3, v33, v29
	s_wait_loadcnt 0x0
	ds_store_2addr_b32 v4, v2, v3 offset1:27
	ds_store_b32 v4, v1 offset:216
	v_lshrrev_b32_e32 v1, 16, v5
	v_add_f16_e32 v3, v27, v28
	v_sub_f16_e32 v4, v27, v28
	s_delay_alu instid0(VALU_DEP_3) | instskip(NEXT) | instid1(VALU_DEP_3)
	v_add_f16_e32 v2, v1, v27
	v_fmac_f16_e32 v1, -0.5, v3
	v_add_f16_e32 v3, v5, v26
	v_add_f16_e32 v27, v26, v25
	s_delay_alu instid0(VALU_DEP_4) | instskip(NEXT) | instid1(VALU_DEP_3)
	v_add_f16_e32 v2, v2, v28
	v_add_f16_e32 v3, v3, v25
	v_sub_f16_e32 v25, v26, v25
	s_delay_alu instid0(VALU_DEP_2) | instskip(SKIP_1) | instid1(VALU_DEP_3)
	v_pack_b32_f16 v2, v3, v2
	v_fma_f16 v3, -0.5, v27, v5
	v_fmamk_f16 v26, v25, 0x3aee, v1
	v_fmac_f16_e32 v1, 0xbaee, v25
	s_delay_alu instid0(VALU_DEP_3) | instskip(SKIP_1) | instid1(VALU_DEP_2)
	v_fmamk_f16 v5, v4, 0xbaee, v3
	v_fmac_f16_e32 v3, 0x3aee, v4
	v_pack_b32_f16 v5, v5, v26
	scratch_load_b32 v26, off, off offset:332 th:TH_LOAD_LU ; 4-byte Folded Reload
	v_pack_b32_f16 v1, v3, v1
	v_add_f16_e32 v3, v6, v21
	s_wait_loadcnt 0x0
	ds_store_b32 v26, v1 offset:216
	v_add_f16_e32 v1, v21, v23
	ds_store_2addr_b32 v26, v2, v5 offset1:27
	v_lshrrev_b32_e32 v2, 16, v6
	v_fmac_f16_e32 v6, -0.5, v1
	v_sub_f16_e32 v1, v22, v24
	s_delay_alu instid0(VALU_DEP_3) | instskip(NEXT) | instid1(VALU_DEP_2)
	v_add_f16_e32 v5, v2, v22
	v_fmamk_f16 v4, v1, 0xbaee, v6
	v_fmac_f16_e32 v6, 0x3aee, v1
	v_add_f16_e32 v1, v22, v24
	s_delay_alu instid0(VALU_DEP_1) | instskip(SKIP_1) | instid1(VALU_DEP_1)
	v_fmac_f16_e32 v2, -0.5, v1
	v_sub_f16_e32 v1, v21, v23
	v_fmamk_f16 v21, v1, 0x3aee, v2
	v_fmac_f16_e32 v2, 0xbaee, v1
	s_delay_alu instid0(VALU_DEP_1) | instskip(SKIP_4) | instid1(VALU_DEP_3)
	v_pack_b32_f16 v1, v6, v2
	v_add_f16_e32 v2, v3, v23
	v_add_f16_e32 v3, v5, v24
	;; [unrolled: 1-line block ×3, first 2 shown]
	v_sub_f16_e32 v6, v18, v17
	v_pack_b32_f16 v2, v2, v3
	v_pack_b32_f16 v3, v4, v21
	scratch_load_b32 v4, off, off offset:336 th:TH_LOAD_LU ; 4-byte Folded Reload
	s_wait_loadcnt 0x0
	ds_store_2addr_b32 v4, v2, v3 offset1:27
	ds_store_b32 v4, v1 offset:216
	v_lshrrev_b32_e32 v1, 16, v7
	v_add_f16_e32 v3, v19, v20
	v_sub_f16_e32 v4, v19, v20
	s_delay_alu instid0(VALU_DEP_3) | instskip(NEXT) | instid1(VALU_DEP_3)
	v_add_f16_e32 v2, v1, v19
	v_fmac_f16_e32 v1, -0.5, v3
	v_add_f16_e32 v3, v7, v18
	s_delay_alu instid0(VALU_DEP_3) | instskip(NEXT) | instid1(VALU_DEP_2)
	v_add_f16_e32 v2, v2, v20
	v_add_f16_e32 v3, v3, v17
	s_delay_alu instid0(VALU_DEP_1) | instskip(SKIP_3) | instid1(VALU_DEP_3)
	v_pack_b32_f16 v2, v3, v2
	v_fma_f16 v3, -0.5, v5, v7
	v_fmamk_f16 v7, v6, 0x3aee, v1
	v_fmac_f16_e32 v1, 0xbaee, v6
	v_fmamk_f16 v5, v4, 0xbaee, v3
	v_fmac_f16_e32 v3, 0x3aee, v4
	s_delay_alu instid0(VALU_DEP_2)
	v_pack_b32_f16 v5, v5, v7
	scratch_load_b32 v7, off, off offset:340 th:TH_LOAD_LU ; 4-byte Folded Reload
	v_pack_b32_f16 v1, v3, v1
	v_add_f16_e32 v3, v8, v13
	s_wait_loadcnt 0x0
	ds_store_b32 v7, v1 offset:216
	v_add_f16_e32 v1, v13, v15
	ds_store_2addr_b32 v7, v2, v5 offset1:27
	v_lshrrev_b32_e32 v2, 16, v8
	v_fmac_f16_e32 v8, -0.5, v1
	v_sub_f16_e32 v1, v14, v16
	s_delay_alu instid0(VALU_DEP_3) | instskip(NEXT) | instid1(VALU_DEP_2)
	v_add_f16_e32 v5, v2, v14
	v_fmamk_f16 v4, v1, 0xbaee, v8
	v_fmac_f16_e32 v8, 0x3aee, v1
	v_add_f16_e32 v1, v14, v16
	s_delay_alu instid0(VALU_DEP_1) | instskip(SKIP_1) | instid1(VALU_DEP_1)
	v_fmac_f16_e32 v2, -0.5, v1
	v_sub_f16_e32 v1, v13, v15
	v_fmamk_f16 v6, v1, 0x3aee, v2
	v_fmac_f16_e32 v2, 0xbaee, v1
	s_delay_alu instid0(VALU_DEP_1) | instskip(SKIP_2) | instid1(VALU_DEP_1)
	v_pack_b32_f16 v1, v8, v2
	v_add_f16_e32 v2, v3, v15
	v_add_f16_e32 v3, v5, v16
	v_pack_b32_f16 v2, v2, v3
	v_pack_b32_f16 v3, v4, v6
	scratch_load_b32 v4, off, off offset:344 th:TH_LOAD_LU ; 4-byte Folded Reload
	s_wait_loadcnt 0x0
	ds_store_2addr_b32 v4, v2, v3 offset1:27
	ds_store_b32 v4, v1 offset:216
	v_add_f16_e32 v1, v9, v11
	v_lshrrev_b32_e32 v2, 16, v0
	v_add_f16_e32 v3, v0, v9
	s_delay_alu instid0(VALU_DEP_3) | instskip(SKIP_1) | instid1(VALU_DEP_4)
	v_fmac_f16_e32 v0, -0.5, v1
	v_sub_f16_e32 v1, v10, v12
	v_add_f16_e32 v5, v2, v10
	s_delay_alu instid0(VALU_DEP_2) | instskip(SKIP_2) | instid1(VALU_DEP_1)
	v_fmamk_f16 v4, v1, 0xbaee, v0
	v_fmac_f16_e32 v0, 0x3aee, v1
	v_add_f16_e32 v1, v10, v12
	v_fmac_f16_e32 v2, -0.5, v1
	v_sub_f16_e32 v1, v9, v11
	s_delay_alu instid0(VALU_DEP_1)
	v_fmamk_f16 v6, v1, 0x3aee, v2
	v_fmac_f16_e32 v2, 0xbaee, v1
	v_add_f16_e32 v1, v3, v11
	scratch_load_b32 v3, off, off offset:348 th:TH_LOAD_LU ; 4-byte Folded Reload
	v_pack_b32_f16 v0, v0, v2
	v_add_f16_e32 v2, v5, v12
	s_delay_alu instid0(VALU_DEP_1)
	v_pack_b32_f16 v1, v1, v2
	v_pack_b32_f16 v2, v4, v6
	s_wait_loadcnt 0x0
	ds_store_2addr_b32 v3, v1, v2 offset1:27
	ds_store_b32 v3, v0 offset:216
	global_wb scope:SCOPE_SE
	s_wait_dscnt 0x0
	s_barrier_signal -1
	s_barrier_wait -1
	global_inv scope:SCOPE_SE
	ds_load_2addr_b32 v[0:1], v139 offset1:243
	s_wait_dscnt 0x0
	v_lshrrev_b32_e32 v2, 16, v1
	v_mul_f16_e64 v3, v152, v1
	s_delay_alu instid0(VALU_DEP_2) | instskip(NEXT) | instid1(VALU_DEP_2)
	v_mul_f16_e64 v9, v152, v2
	v_fma_f16 v10, v72, v2, -v3
	ds_load_b32 v2, v120 offset:25272
	v_fmac_f16_e32 v9, v72, v1
	v_lshrrev_b32_e32 v1, 16, v0
	s_delay_alu instid0(VALU_DEP_1) | instskip(NEXT) | instid1(VALU_DEP_1)
	v_mul_f16_e64 v13, v150, v1
	v_fmac_f16_e32 v13, v70, v0
	s_wait_dscnt 0x0
	v_lshrrev_b32_e32 v3, 16, v2
	v_mul_f16_e64 v4, v151, v2
	s_delay_alu instid0(VALU_DEP_2) | instskip(NEXT) | instid1(VALU_DEP_2)
	v_mul_f16_e64 v11, v151, v3
	v_fma_f16 v12, v73, v3, -v4
	s_delay_alu instid0(VALU_DEP_2) | instskip(SKIP_1) | instid1(VALU_DEP_1)
	v_fmac_f16_e32 v11, v73, v2
	v_mul_f16_e64 v2, v150, v0
	v_fma_f16 v14, v70, v1, -v2
	ds_load_2addr_b32 v[0:1], v142 offset0:8 offset1:251
	s_wait_dscnt 0x0
	v_lshrrev_b32_e32 v2, 16, v1
	v_mul_f16_e64 v3, v212, v1
	s_delay_alu instid0(VALU_DEP_2) | instskip(NEXT) | instid1(VALU_DEP_2)
	v_mul_f16_e64 v15, v212, v2
	v_fma_f16 v16, v71, v2, -v3
	v_lshrrev_b32_e32 v2, 16, v0
	v_mul_f16_e64 v3, v211, v0
	s_delay_alu instid0(VALU_DEP_4) | instskip(NEXT) | instid1(VALU_DEP_3)
	v_fmac_f16_e32 v15, v71, v1
	v_mul_f16_e64 v17, v211, v2
	s_delay_alu instid0(VALU_DEP_3) | instskip(NEXT) | instid1(VALU_DEP_2)
	v_fma_f16 v20, v69, v2, -v3
	v_fmac_f16_e32 v17, v69, v0
	ds_load_2addr_b32 v[0:1], v147 offset0:10 offset1:253
	s_wait_dscnt 0x0
	v_lshrrev_b32_e32 v4, 16, v1
	v_mul_f16_e64 v5, v210, v1
	v_mul_f16_e64 v2, v207, v0
	s_delay_alu instid0(VALU_DEP_3) | instskip(NEXT) | instid1(VALU_DEP_3)
	v_mul_f16_e64 v18, v210, v4
	v_fma_f16 v19, v68, v4, -v5
	s_delay_alu instid0(VALU_DEP_2) | instskip(SKIP_1) | instid1(VALU_DEP_1)
	v_fmac_f16_e32 v18, v68, v1
	v_lshrrev_b32_e32 v1, 16, v0
	v_mul_f16_e64 v21, v207, v1
	v_fma_f16 v22, v66, v1, -v2
	s_delay_alu instid0(VALU_DEP_2) | instskip(SKIP_4) | instid1(VALU_DEP_2)
	v_fmac_f16_e32 v21, v66, v0
	ds_load_2addr_b32 v[0:1], v158 offset0:2 offset1:245
	s_wait_dscnt 0x0
	v_lshrrev_b32_e32 v2, 16, v1
	v_mul_f16_e64 v3, v204, v1
	v_mul_f16_e64 v23, v204, v2
	s_delay_alu instid0(VALU_DEP_2) | instskip(SKIP_2) | instid1(VALU_DEP_4)
	v_fma_f16 v24, v67, v2, -v3
	v_lshrrev_b32_e32 v2, 16, v0
	v_mul_f16_e64 v3, v203, v0
	v_fmac_f16_e32 v23, v67, v1
	s_delay_alu instid0(VALU_DEP_3) | instskip(NEXT) | instid1(VALU_DEP_3)
	v_mul_f16_e64 v25, v203, v2
	v_fma_f16 v28, v65, v2, -v3
	s_delay_alu instid0(VALU_DEP_2)
	v_fmac_f16_e32 v25, v65, v0
	ds_load_2addr_b32 v[0:1], v160 offset0:4 offset1:247
	s_wait_dscnt 0x0
	v_lshrrev_b32_e32 v4, 16, v1
	v_mul_f16_e64 v5, v202, v1
	v_mul_f16_e64 v2, v201, v0
	s_delay_alu instid0(VALU_DEP_3) | instskip(NEXT) | instid1(VALU_DEP_3)
	v_mul_f16_e64 v26, v202, v4
	v_fma_f16 v27, v64, v4, -v5
	s_delay_alu instid0(VALU_DEP_2) | instskip(SKIP_1) | instid1(VALU_DEP_1)
	v_fmac_f16_e32 v26, v64, v1
	v_lshrrev_b32_e32 v1, 16, v0
	v_mul_f16_e64 v29, v201, v1
	v_fma_f16 v30, v62, v1, -v2
	s_delay_alu instid0(VALU_DEP_2) | instskip(SKIP_4) | instid1(VALU_DEP_2)
	v_fmac_f16_e32 v29, v62, v0
	ds_load_2addr_b32 v[0:1], v179 offset0:12 offset1:255
	s_wait_dscnt 0x0
	v_lshrrev_b32_e32 v2, 16, v1
	v_mul_f16_e64 v3, v143, v1
	v_mul_f16_e64 v31, v143, v2
	s_delay_alu instid0(VALU_DEP_2) | instskip(SKIP_2) | instid1(VALU_DEP_4)
	v_fma_f16 v32, v63, v2, -v3
	v_lshrrev_b32_e32 v2, 16, v0
	v_mul_f16_e64 v3, v200, v0
	v_fmac_f16_e32 v31, v63, v1
	s_delay_alu instid0(VALU_DEP_3) | instskip(NEXT) | instid1(VALU_DEP_3)
	v_mul_f16_e64 v33, v200, v2
	v_fma_f16 v36, v61, v2, -v3
	s_delay_alu instid0(VALU_DEP_2)
	v_fmac_f16_e32 v33, v61, v0
	ds_load_2addr_b32 v[0:1], v176 offset0:6 offset1:249
	s_wait_dscnt 0x0
	v_lshrrev_b32_e32 v4, 16, v1
	v_mul_f16_e64 v5, v140, v1
	v_mul_f16_e64 v2, v197, v0
	s_delay_alu instid0(VALU_DEP_3) | instskip(NEXT) | instid1(VALU_DEP_3)
	v_mul_f16_e64 v34, v140, v4
	v_fma_f16 v35, v60, v4, -v5
	s_delay_alu instid0(VALU_DEP_2) | instskip(SKIP_1) | instid1(VALU_DEP_1)
	v_fmac_f16_e32 v34, v60, v1
	v_lshrrev_b32_e32 v1, 16, v0
	v_mul_f16_e64 v37, v197, v1
	v_fma_f16 v38, v58, v1, -v2
	s_delay_alu instid0(VALU_DEP_2)
	v_fmac_f16_e32 v37, v58, v0
	ds_load_2addr_b32 v[0:1], v185 offset0:6 offset1:249
	s_wait_dscnt 0x0
	v_lshrrev_b32_e32 v2, 16, v1
	v_mul_f16_e64 v3, v196, v1
	v_mul_f16_e64 v4, v145, v0
	s_delay_alu instid0(VALU_DEP_3) | instskip(NEXT) | instid1(VALU_DEP_3)
	v_mul_f16_e64 v39, v196, v2
	v_fma_f16 v40, v59, v2, -v3
	v_lshrrev_b32_e32 v2, 16, v0
	s_delay_alu instid0(VALU_DEP_3) | instskip(NEXT) | instid1(VALU_DEP_2)
	v_fmac_f16_e32 v39, v59, v1
	v_mul_f16_e64 v3, v145, v2
	v_fma_f16 v4, v57, v2, -v4
	s_delay_alu instid0(VALU_DEP_2) | instskip(SKIP_4) | instid1(VALU_DEP_2)
	v_fmac_f16_e32 v3, v57, v0
	ds_load_2addr_b32 v[0:1], v186 offset0:8 offset1:251
	s_wait_dscnt 0x0
	v_lshrrev_b32_e32 v5, 16, v1
	v_mul_f16_e64 v6, v149, v1
	v_mul_f16_e64 v7, v149, v5
	s_delay_alu instid0(VALU_DEP_2) | instskip(NEXT) | instid1(VALU_DEP_2)
	v_fma_f16 v5, v56, v5, -v6
	v_fmac_f16_e32 v7, v56, v1
	ds_load_2addr_b32 v[1:2], v120 offset1:243
	v_add_f16_e32 v8, v5, v4
	v_sub_f16_e32 v42, v5, v4
	v_sub_f16_e32 v43, v7, v3
	s_wait_dscnt 0x0
	v_lshrrev_b32_e32 v41, 16, v1
	s_delay_alu instid0(VALU_DEP_1) | instskip(SKIP_2) | instid1(VALU_DEP_3)
	v_add_f16_e32 v6, v41, v5
	v_add_f16_e32 v5, v1, v7
	v_fmac_f16_e32 v41, -0.5, v8
	v_add_f16_e32 v4, v6, v4
	v_add_f16_e32 v6, v7, v3
	s_delay_alu instid0(VALU_DEP_4) | instskip(NEXT) | instid1(VALU_DEP_2)
	v_add_f16_e32 v5, v5, v3
	v_fma_f16 v1, -0.5, v6, v1
	s_delay_alu instid0(VALU_DEP_2) | instskip(SKIP_2) | instid1(VALU_DEP_4)
	v_pack_b32_f16 v44, v5, v4
	v_fmamk_f16 v4, v43, 0x3aee, v41
	v_fmac_f16_e32 v41, 0xbaee, v43
	v_fmamk_f16 v3, v42, 0xbaee, v1
	v_fmac_f16_e32 v1, 0x3aee, v42
	v_add_f16_e32 v42, v2, v37
	s_delay_alu instid0(VALU_DEP_3)
	v_pack_b32_f16 v45, v3, v4
	ds_load_2addr_b32 v[3:4], v171 offset0:6 offset1:249
	ds_load_2addr_b32 v[5:6], v157 offset0:12 offset1:255
	ds_load_2addr_b32 v[7:8], v141 offset0:2 offset1:245
	global_wb scope:SCOPE_SE
	s_wait_dscnt 0x0
	s_barrier_signal -1
	s_barrier_wait -1
	global_inv scope:SCOPE_SE
	scratch_load_b32 v46, off, off offset:352 th:TH_LOAD_LU ; 4-byte Folded Reload
	v_pack_b32_f16 v1, v1, v41
	v_lshrrev_b32_e32 v41, 16, v2
	s_wait_loadcnt 0x0
	ds_store_b32 v46, v1 offset:648
	v_add_f16_e32 v1, v37, v39
	ds_store_2addr_b32 v46, v44, v45 offset1:81
	v_fmac_f16_e32 v2, -0.5, v1
	v_sub_f16_e32 v1, v38, v40
	s_delay_alu instid0(VALU_DEP_1) | instskip(SKIP_3) | instid1(VALU_DEP_2)
	v_fmamk_f16 v43, v1, 0xbaee, v2
	v_fmac_f16_e32 v2, 0x3aee, v1
	v_add_f16_e32 v1, v38, v40
	v_add_f16_e32 v38, v41, v38
	v_fmac_f16_e32 v41, -0.5, v1
	v_sub_f16_e32 v1, v37, v39
	s_delay_alu instid0(VALU_DEP_3) | instskip(NEXT) | instid1(VALU_DEP_2)
	v_add_f16_e32 v38, v38, v40
	v_fmamk_f16 v37, v1, 0x3aee, v41
	v_fmac_f16_e32 v41, 0xbaee, v1
	s_delay_alu instid0(VALU_DEP_2) | instskip(NEXT) | instid1(VALU_DEP_2)
	v_pack_b32_f16 v37, v43, v37
	v_pack_b32_f16 v1, v2, v41
	v_add_f16_e32 v2, v42, v39
	s_delay_alu instid0(VALU_DEP_1) | instskip(SKIP_4) | instid1(VALU_DEP_2)
	v_pack_b32_f16 v2, v2, v38
	ds_store_2addr_b32 v166, v2, v37 offset1:81
	ds_store_b32 v166, v1 offset:648
	v_lshrrev_b32_e32 v1, 16, v3
	v_add_f16_e32 v37, v35, v36
	v_add_f16_e32 v2, v1, v35
	v_sub_f16_e32 v35, v35, v36
	s_delay_alu instid0(VALU_DEP_3) | instskip(SKIP_1) | instid1(VALU_DEP_4)
	v_fmac_f16_e32 v1, -0.5, v37
	v_add_f16_e32 v37, v34, v33
	v_add_f16_e32 v2, v2, v36
	;; [unrolled: 1-line block ×3, first 2 shown]
	s_delay_alu instid0(VALU_DEP_3) | instskip(NEXT) | instid1(VALU_DEP_2)
	v_fma_f16 v3, -0.5, v37, v3
	v_add_f16_e32 v36, v36, v33
	v_sub_f16_e32 v33, v34, v33
	s_delay_alu instid0(VALU_DEP_3) | instskip(SKIP_1) | instid1(VALU_DEP_4)
	v_fmamk_f16 v34, v35, 0xbaee, v3
	v_fmac_f16_e32 v3, 0x3aee, v35
	v_pack_b32_f16 v2, v36, v2
	s_delay_alu instid0(VALU_DEP_4) | instskip(SKIP_1) | instid1(VALU_DEP_2)
	v_fmamk_f16 v36, v33, 0x3aee, v1
	v_fmac_f16_e32 v1, 0xbaee, v33
	v_pack_b32_f16 v34, v34, v36
	s_delay_alu instid0(VALU_DEP_2)
	v_pack_b32_f16 v1, v3, v1
	v_add_f16_e32 v3, v4, v29
	ds_store_2addr_b32 v167, v2, v34 offset1:81
	ds_store_b32 v167, v1 offset:648
	v_add_f16_e32 v1, v29, v31
	v_lshrrev_b32_e32 v2, 16, v4
	s_delay_alu instid0(VALU_DEP_2) | instskip(SKIP_1) | instid1(VALU_DEP_1)
	v_fmac_f16_e32 v4, -0.5, v1
	v_sub_f16_e32 v1, v30, v32
	v_fmamk_f16 v33, v1, 0xbaee, v4
	v_fmac_f16_e32 v4, 0x3aee, v1
	v_add_f16_e32 v1, v30, v32
	v_add_f16_e32 v30, v2, v30
	s_delay_alu instid0(VALU_DEP_2) | instskip(SKIP_1) | instid1(VALU_DEP_1)
	v_fmac_f16_e32 v2, -0.5, v1
	v_sub_f16_e32 v1, v29, v31
	v_fmamk_f16 v29, v1, 0x3aee, v2
	v_fmac_f16_e32 v2, 0xbaee, v1
	s_delay_alu instid0(VALU_DEP_1) | instskip(SKIP_3) | instid1(VALU_DEP_2)
	v_pack_b32_f16 v1, v4, v2
	v_add_f16_e32 v2, v3, v31
	v_add_f16_e32 v3, v30, v32
	v_sub_f16_e32 v4, v27, v28
	v_pack_b32_f16 v2, v2, v3
	v_pack_b32_f16 v3, v33, v29
	ds_store_2addr_b32 v180, v2, v3 offset1:81
	ds_store_b32 v180, v1 offset:648
	v_lshrrev_b32_e32 v1, 16, v5
	v_add_f16_e32 v3, v27, v28
	s_delay_alu instid0(VALU_DEP_2) | instskip(NEXT) | instid1(VALU_DEP_2)
	v_add_f16_e32 v2, v1, v27
	v_fmac_f16_e32 v1, -0.5, v3
	v_add_f16_e32 v3, v5, v26
	v_add_f16_e32 v27, v26, v25
	s_delay_alu instid0(VALU_DEP_4) | instskip(NEXT) | instid1(VALU_DEP_3)
	v_add_f16_e32 v2, v2, v28
	v_add_f16_e32 v3, v3, v25
	v_sub_f16_e32 v25, v26, v25
	s_delay_alu instid0(VALU_DEP_2) | instskip(SKIP_1) | instid1(VALU_DEP_3)
	v_pack_b32_f16 v2, v3, v2
	v_fma_f16 v3, -0.5, v27, v5
	v_fmamk_f16 v26, v25, 0x3aee, v1
	v_fmac_f16_e32 v1, 0xbaee, v25
	s_delay_alu instid0(VALU_DEP_3) | instskip(SKIP_1) | instid1(VALU_DEP_2)
	v_fmamk_f16 v5, v4, 0xbaee, v3
	v_fmac_f16_e32 v3, 0x3aee, v4
	v_pack_b32_f16 v5, v5, v26
	s_delay_alu instid0(VALU_DEP_2)
	v_pack_b32_f16 v1, v3, v1
	v_add_f16_e32 v3, v6, v21
	ds_store_2addr_b32 v182, v2, v5 offset1:81
	ds_store_b32 v182, v1 offset:648
	v_add_f16_e32 v1, v21, v23
	v_lshrrev_b32_e32 v2, 16, v6
	s_delay_alu instid0(VALU_DEP_2) | instskip(SKIP_1) | instid1(VALU_DEP_3)
	v_fmac_f16_e32 v6, -0.5, v1
	v_sub_f16_e32 v1, v22, v24
	v_add_f16_e32 v5, v2, v22
	s_delay_alu instid0(VALU_DEP_2) | instskip(SKIP_2) | instid1(VALU_DEP_1)
	v_fmamk_f16 v4, v1, 0xbaee, v6
	v_fmac_f16_e32 v6, 0x3aee, v1
	v_add_f16_e32 v1, v22, v24
	v_fmac_f16_e32 v2, -0.5, v1
	v_sub_f16_e32 v1, v21, v23
	s_delay_alu instid0(VALU_DEP_1) | instskip(SKIP_1) | instid1(VALU_DEP_1)
	v_fmamk_f16 v21, v1, 0x3aee, v2
	v_fmac_f16_e32 v2, 0xbaee, v1
	v_pack_b32_f16 v1, v6, v2
	v_add_f16_e32 v2, v3, v23
	v_add_f16_e32 v3, v5, v24
	;; [unrolled: 1-line block ×3, first 2 shown]
	v_sub_f16_e32 v6, v18, v17
	s_delay_alu instid0(VALU_DEP_3)
	v_pack_b32_f16 v2, v2, v3
	v_pack_b32_f16 v3, v4, v21
	ds_store_2addr_b32 v183, v2, v3 offset1:81
	ds_store_b32 v183, v1 offset:648
	v_lshrrev_b32_e32 v1, 16, v7
	v_add_f16_e32 v3, v19, v20
	v_sub_f16_e32 v4, v19, v20
	s_delay_alu instid0(VALU_DEP_3) | instskip(NEXT) | instid1(VALU_DEP_3)
	v_add_f16_e32 v2, v1, v19
	v_fmac_f16_e32 v1, -0.5, v3
	v_add_f16_e32 v3, v7, v18
	s_delay_alu instid0(VALU_DEP_3) | instskip(NEXT) | instid1(VALU_DEP_2)
	v_add_f16_e32 v2, v2, v20
	v_add_f16_e32 v3, v3, v17
	s_delay_alu instid0(VALU_DEP_1) | instskip(SKIP_3) | instid1(VALU_DEP_3)
	v_pack_b32_f16 v2, v3, v2
	v_fma_f16 v3, -0.5, v5, v7
	v_fmamk_f16 v7, v6, 0x3aee, v1
	v_fmac_f16_e32 v1, 0xbaee, v6
	v_fmamk_f16 v5, v4, 0xbaee, v3
	v_fmac_f16_e32 v3, 0x3aee, v4
	s_delay_alu instid0(VALU_DEP_2) | instskip(NEXT) | instid1(VALU_DEP_2)
	v_pack_b32_f16 v5, v5, v7
	v_pack_b32_f16 v1, v3, v1
	v_add_f16_e32 v3, v8, v13
	ds_store_2addr_b32 v188, v2, v5 offset1:81
	ds_store_b32 v188, v1 offset:648
	v_add_f16_e32 v1, v13, v15
	v_lshrrev_b32_e32 v2, 16, v8
	s_delay_alu instid0(VALU_DEP_2) | instskip(SKIP_1) | instid1(VALU_DEP_3)
	v_fmac_f16_e32 v8, -0.5, v1
	v_sub_f16_e32 v1, v14, v16
	v_add_f16_e32 v5, v2, v14
	s_delay_alu instid0(VALU_DEP_2) | instskip(SKIP_2) | instid1(VALU_DEP_1)
	v_fmamk_f16 v4, v1, 0xbaee, v8
	v_fmac_f16_e32 v8, 0x3aee, v1
	v_add_f16_e32 v1, v14, v16
	v_fmac_f16_e32 v2, -0.5, v1
	v_sub_f16_e32 v1, v13, v15
	s_delay_alu instid0(VALU_DEP_1) | instskip(SKIP_1) | instid1(VALU_DEP_1)
	v_fmamk_f16 v6, v1, 0x3aee, v2
	v_fmac_f16_e32 v2, 0xbaee, v1
	v_pack_b32_f16 v1, v8, v2
	v_add_f16_e32 v2, v3, v15
	v_add_f16_e32 v3, v5, v16
	s_delay_alu instid0(VALU_DEP_1)
	v_pack_b32_f16 v2, v2, v3
	v_pack_b32_f16 v3, v4, v6
	ds_store_2addr_b32 v190, v2, v3 offset1:81
	ds_store_b32 v190, v1 offset:648
	v_add_f16_e32 v1, v9, v11
	v_lshrrev_b32_e32 v2, 16, v0
	v_add_f16_e32 v3, v0, v9
	s_delay_alu instid0(VALU_DEP_3) | instskip(SKIP_1) | instid1(VALU_DEP_4)
	v_fmac_f16_e32 v0, -0.5, v1
	v_sub_f16_e32 v1, v10, v12
	v_add_f16_e32 v5, v2, v10
	s_delay_alu instid0(VALU_DEP_2) | instskip(SKIP_2) | instid1(VALU_DEP_1)
	v_fmamk_f16 v4, v1, 0xbaee, v0
	v_fmac_f16_e32 v0, 0x3aee, v1
	v_add_f16_e32 v1, v10, v12
	v_fmac_f16_e32 v2, -0.5, v1
	v_sub_f16_e32 v1, v9, v11
	s_delay_alu instid0(VALU_DEP_1) | instskip(SKIP_2) | instid1(VALU_DEP_2)
	v_fmamk_f16 v6, v1, 0x3aee, v2
	v_fmac_f16_e32 v2, 0xbaee, v1
	v_add_f16_e32 v1, v3, v11
	v_pack_b32_f16 v0, v0, v2
	v_add_f16_e32 v2, v5, v12
	s_delay_alu instid0(VALU_DEP_1)
	v_pack_b32_f16 v1, v1, v2
	v_pack_b32_f16 v2, v4, v6
	ds_store_2addr_b32 v191, v1, v2 offset1:81
	ds_store_b32 v191, v0 offset:648
	global_wb scope:SCOPE_SE
	s_wait_dscnt 0x0
	s_barrier_signal -1
	s_barrier_wait -1
	global_inv scope:SCOPE_SE
	ds_load_2addr_b32 v[0:1], v185 offset0:6 offset1:249
	ds_load_2addr_b32 v[2:3], v139 offset1:243
	s_wait_dscnt 0x1
	v_lshrrev_b32_e32 v6, 16, v1
	s_wait_dscnt 0x0
	v_lshrrev_b32_e32 v8, 16, v3
	v_mul_f16_e64 v9, v238, v3
	v_mul_f16_e64 v7, v219, v1
	v_lshrrev_b32_e32 v4, 16, v0
	v_mul_f16_e64 v11, v219, v6
	s_delay_alu instid0(VALU_DEP_4) | instskip(NEXT) | instid1(VALU_DEP_4)
	v_fma_f16 v12, v100, v8, -v9
	v_fma_f16 v42, v75, v6, -v7
	s_delay_alu instid0(VALU_DEP_4) | instskip(NEXT) | instid1(VALU_DEP_4)
	v_mul_f16_e64 v5, v219, v4
	v_fmac_f16_e32 v11, v75, v1
	v_mul_f16_e64 v1, v238, v8
	ds_load_b32 v8, v120 offset:25272
	v_fmac_f16_e32 v5, v75, v0
	v_mul_f16_e64 v0, v219, v0
	v_fmac_f16_e32 v1, v100, v3
	v_lshrrev_b32_e32 v3, 16, v2
	s_delay_alu instid0(VALU_DEP_3) | instskip(NEXT) | instid1(VALU_DEP_2)
	v_fma_f16 v0, v75, v4, -v0
	v_mul_f16_e64 v15, v236, v3
	s_delay_alu instid0(VALU_DEP_1) | instskip(SKIP_3) | instid1(VALU_DEP_2)
	v_fmac_f16_e32 v15, v96, v2
	s_wait_dscnt 0x0
	v_lshrrev_b32_e32 v9, 16, v8
	v_mul_f16_e64 v10, v237, v8
	v_mul_f16_e64 v13, v237, v9
	s_delay_alu instid0(VALU_DEP_2) | instskip(NEXT) | instid1(VALU_DEP_2)
	v_fma_f16 v14, v101, v9, -v10
	v_fmac_f16_e32 v13, v101, v8
	v_mul_f16_e64 v8, v236, v2
	s_delay_alu instid0(VALU_DEP_1) | instskip(SKIP_4) | instid1(VALU_DEP_2)
	v_fma_f16 v16, v96, v3, -v8
	ds_load_2addr_b32 v[2:3], v142 offset0:8 offset1:251
	s_wait_dscnt 0x0
	v_lshrrev_b32_e32 v8, 16, v3
	v_mul_f16_e64 v9, v235, v3
	v_mul_f16_e64 v17, v235, v8
	s_delay_alu instid0(VALU_DEP_2) | instskip(SKIP_2) | instid1(VALU_DEP_4)
	v_fma_f16 v18, v97, v8, -v9
	v_lshrrev_b32_e32 v8, 16, v2
	v_mul_f16_e64 v9, v234, v2
	v_fmac_f16_e32 v17, v97, v3
	s_delay_alu instid0(VALU_DEP_3) | instskip(NEXT) | instid1(VALU_DEP_3)
	v_mul_f16_e64 v19, v234, v8
	v_fma_f16 v22, v93, v8, -v9
	s_delay_alu instid0(VALU_DEP_2)
	v_fmac_f16_e32 v19, v93, v2
	ds_load_2addr_b32 v[2:3], v147 offset0:10 offset1:253
	s_wait_dscnt 0x0
	v_lshrrev_b32_e32 v10, 16, v3
	v_mul_f16_e64 v20, v233, v3
	v_mul_f16_e64 v8, v232, v2
	s_delay_alu instid0(VALU_DEP_3) | instskip(NEXT) | instid1(VALU_DEP_3)
	v_mul_f16_e64 v21, v233, v10
	v_fma_f16 v20, v92, v10, -v20
	s_delay_alu instid0(VALU_DEP_2) | instskip(SKIP_1) | instid1(VALU_DEP_1)
	v_fmac_f16_e32 v21, v92, v3
	v_lshrrev_b32_e32 v3, 16, v2
	v_mul_f16_e64 v23, v232, v3
	v_fma_f16 v24, v86, v3, -v8
	s_delay_alu instid0(VALU_DEP_2) | instskip(SKIP_4) | instid1(VALU_DEP_2)
	v_fmac_f16_e32 v23, v86, v2
	ds_load_2addr_b32 v[2:3], v158 offset0:2 offset1:245
	s_wait_dscnt 0x0
	v_lshrrev_b32_e32 v8, 16, v3
	v_mul_f16_e64 v9, v230, v3
	v_mul_f16_e64 v25, v230, v8
	s_delay_alu instid0(VALU_DEP_2) | instskip(SKIP_2) | instid1(VALU_DEP_4)
	v_fma_f16 v26, v87, v8, -v9
	v_lshrrev_b32_e32 v8, 16, v2
	v_mul_f16_e64 v9, v226, v2
	v_fmac_f16_e32 v25, v87, v3
	s_delay_alu instid0(VALU_DEP_3) | instskip(NEXT) | instid1(VALU_DEP_3)
	v_mul_f16_e64 v27, v226, v8
	v_fma_f16 v30, v81, v8, -v9
	s_delay_alu instid0(VALU_DEP_2)
	v_fmac_f16_e32 v27, v81, v2
	ds_load_2addr_b32 v[2:3], v160 offset0:4 offset1:247
	s_wait_dscnt 0x0
	v_lshrrev_b32_e32 v10, 16, v3
	v_mul_f16_e64 v28, v224, v3
	v_mul_f16_e64 v8, v222, v2
	s_delay_alu instid0(VALU_DEP_3) | instskip(NEXT) | instid1(VALU_DEP_3)
	v_mul_f16_e64 v29, v224, v10
	v_fma_f16 v28, v80, v10, -v28
	s_delay_alu instid0(VALU_DEP_2) | instskip(SKIP_1) | instid1(VALU_DEP_1)
	v_fmac_f16_e32 v29, v80, v3
	v_lshrrev_b32_e32 v3, 16, v2
	v_mul_f16_e64 v31, v222, v3
	v_fma_f16 v32, v78, v3, -v8
	s_delay_alu instid0(VALU_DEP_2) | instskip(SKIP_4) | instid1(VALU_DEP_2)
	v_fmac_f16_e32 v31, v78, v2
	ds_load_2addr_b32 v[2:3], v179 offset0:12 offset1:255
	s_wait_dscnt 0x0
	v_lshrrev_b32_e32 v8, 16, v3
	v_mul_f16_e64 v9, v220, v3
	v_mul_f16_e64 v33, v220, v8
	s_delay_alu instid0(VALU_DEP_2) | instskip(SKIP_2) | instid1(VALU_DEP_4)
	v_fma_f16 v34, v79, v8, -v9
	v_lshrrev_b32_e32 v8, 16, v2
	v_mul_f16_e64 v9, v155, v2
	v_fmac_f16_e32 v33, v79, v3
	s_delay_alu instid0(VALU_DEP_3) | instskip(NEXT) | instid1(VALU_DEP_3)
	v_mul_f16_e64 v35, v155, v8
	v_fma_f16 v38, v77, v8, -v9
	s_delay_alu instid0(VALU_DEP_2)
	v_fmac_f16_e32 v35, v77, v2
	ds_load_2addr_b32 v[2:3], v176 offset0:6 offset1:249
	s_wait_dscnt 0x0
	v_lshrrev_b32_e32 v10, 16, v3
	v_lshrrev_b32_e32 v8, 16, v2
	v_mul_f16_e64 v36, v217, v3
	v_mul_f16_e64 v9, v208, v2
	s_delay_alu instid0(VALU_DEP_4) | instskip(NEXT) | instid1(VALU_DEP_4)
	v_mul_f16_e64 v37, v217, v10
	v_mul_f16_e64 v39, v208, v8
	s_delay_alu instid0(VALU_DEP_4) | instskip(NEXT) | instid1(VALU_DEP_3)
	v_fma_f16 v36, v76, v10, -v36
	v_fmac_f16_e32 v37, v76, v3
	s_delay_alu instid0(VALU_DEP_3) | instskip(SKIP_4) | instid1(VALU_DEP_2)
	v_fmac_f16_e32 v39, v74, v2
	ds_load_2addr_b32 v[2:3], v186 offset0:8 offset1:251
	s_wait_dscnt 0x0
	v_lshrrev_b32_e32 v10, 16, v3
	v_mul_f16_e64 v40, v208, v3
	v_mul_f16_e64 v41, v208, v10
	s_delay_alu instid0(VALU_DEP_2) | instskip(SKIP_1) | instid1(VALU_DEP_3)
	v_fma_f16 v10, v74, v10, -v40
	v_fma_f16 v40, v74, v8, -v9
	v_fmac_f16_e32 v41, v74, v3
	ds_load_2addr_b32 v[3:4], v120 offset1:243
	v_add_f16_e32 v7, v10, v0
	v_sub_f16_e32 v44, v10, v0
	s_wait_dscnt 0x0
	v_lshrrev_b32_e32 v43, 16, v3
	s_delay_alu instid0(VALU_DEP_1) | instskip(SKIP_2) | instid1(VALU_DEP_3)
	v_add_f16_e32 v6, v43, v10
	v_fmac_f16_e32 v43, -0.5, v7
	v_add_f16_e32 v7, v41, v5
	v_add_f16_e32 v0, v6, v0
	v_add_f16_e32 v6, v3, v41
	v_sub_f16_e32 v41, v41, v5
	s_delay_alu instid0(VALU_DEP_4) | instskip(NEXT) | instid1(VALU_DEP_3)
	v_fma_f16 v3, -0.5, v7, v3
	v_add_f16_e32 v6, v6, v5
	s_delay_alu instid0(VALU_DEP_2) | instskip(SKIP_1) | instid1(VALU_DEP_3)
	v_fmamk_f16 v5, v44, 0xbaee, v3
	v_fmac_f16_e32 v3, 0x3aee, v44
	v_pack_b32_f16 v0, v6, v0
	v_fmamk_f16 v6, v41, 0x3aee, v43
	v_fmac_f16_e32 v43, 0xbaee, v41
	v_lshrrev_b32_e32 v41, 16, v4
	s_delay_alu instid0(VALU_DEP_3)
	v_pack_b32_f16 v45, v5, v6
	ds_load_2addr_b32 v[5:6], v171 offset0:6 offset1:249
	ds_load_2addr_b32 v[7:8], v157 offset0:12 offset1:255
	;; [unrolled: 1-line block ×3, first 2 shown]
	global_wb scope:SCOPE_SE
	s_wait_dscnt 0x0
	s_barrier_signal -1
	s_barrier_wait -1
	global_inv scope:SCOPE_SE
	ds_store_2addr_b32 v120, v0, v45 offset1:243
	v_pack_b32_f16 v0, v3, v43
	v_add_f16_e32 v3, v4, v39
	v_add_f16_e32 v43, v41, v40
	s_delay_alu instid0(VALU_DEP_2) | instskip(NEXT) | instid1(VALU_DEP_2)
	v_add_f16_e32 v3, v3, v11
	v_add_f16_e32 v43, v43, v42
	s_delay_alu instid0(VALU_DEP_1) | instskip(SKIP_3) | instid1(VALU_DEP_2)
	v_pack_b32_f16 v3, v3, v43
	ds_store_2addr_b32 v171, v0, v3 offset0:6 offset1:249
	v_add_f16_e32 v0, v39, v11
	v_sub_f16_e32 v3, v40, v42
	v_fmac_f16_e32 v4, -0.5, v0
	v_add_f16_e32 v0, v40, v42
	s_delay_alu instid0(VALU_DEP_1) | instskip(SKIP_1) | instid1(VALU_DEP_4)
	v_fmac_f16_e32 v41, -0.5, v0
	v_sub_f16_e32 v0, v39, v11
	v_fmamk_f16 v11, v3, 0xbaee, v4
	v_fmac_f16_e32 v4, 0x3aee, v3
	s_delay_alu instid0(VALU_DEP_3) | instskip(SKIP_1) | instid1(VALU_DEP_2)
	v_fmamk_f16 v3, v0, 0x3aee, v41
	v_fmac_f16_e32 v41, 0xbaee, v0
	v_pack_b32_f16 v3, v11, v3
	s_delay_alu instid0(VALU_DEP_2) | instskip(SKIP_4) | instid1(VALU_DEP_1)
	v_pack_b32_f16 v0, v4, v41
	v_add_f16_e32 v4, v36, v38
	v_sub_f16_e32 v11, v36, v38
	ds_store_2addr_b32 v157, v3, v0 offset0:12 offset1:255
	v_lshrrev_b32_e32 v0, 16, v5
	v_add_f16_e32 v3, v0, v36
	v_fmac_f16_e32 v0, -0.5, v4
	v_add_f16_e32 v4, v5, v37
	v_add_f16_e32 v36, v37, v35
	s_delay_alu instid0(VALU_DEP_4) | instskip(NEXT) | instid1(VALU_DEP_3)
	v_add_f16_e32 v3, v3, v38
	v_add_f16_e32 v4, v4, v35
	v_sub_f16_e32 v35, v37, v35
	s_delay_alu instid0(VALU_DEP_2) | instskip(SKIP_1) | instid1(VALU_DEP_3)
	v_pack_b32_f16 v3, v4, v3
	v_fma_f16 v4, -0.5, v36, v5
	v_fmamk_f16 v36, v35, 0x3aee, v0
	v_fmac_f16_e32 v0, 0xbaee, v35
	s_delay_alu instid0(VALU_DEP_3) | instskip(SKIP_1) | instid1(VALU_DEP_2)
	v_fmamk_f16 v5, v11, 0xbaee, v4
	v_fmac_f16_e32 v4, 0x3aee, v11
	v_pack_b32_f16 v5, v5, v36
	scratch_load_b32 v36, off, off offset:376 th:TH_LOAD_LU ; 4-byte Folded Reload
	v_pack_b32_f16 v0, v4, v0
	s_wait_loadcnt 0x0
	ds_store_2addr_b32 v36, v3, v5 offset0:2 offset1:245
	v_add_f16_e32 v3, v31, v33
	v_lshrrev_b32_e32 v5, 16, v6
	v_add_f16_e32 v36, v6, v31
	v_sub_f16_e32 v31, v31, v33
	s_delay_alu instid0(VALU_DEP_4) | instskip(SKIP_2) | instid1(VALU_DEP_2)
	v_fmac_f16_e32 v6, -0.5, v3
	v_add_f16_e32 v3, v32, v34
	v_add_f16_e32 v37, v5, v32
	v_fmac_f16_e32 v5, -0.5, v3
	v_sub_f16_e32 v3, v32, v34
	s_delay_alu instid0(VALU_DEP_3) | instskip(SKIP_2) | instid1(VALU_DEP_4)
	v_add_f16_e32 v32, v37, v34
	v_add_f16_e32 v34, v36, v33
	;; [unrolled: 1-line block ×3, first 2 shown]
	v_fmamk_f16 v33, v3, 0xbaee, v6
	v_fmac_f16_e32 v6, 0x3aee, v3
	s_delay_alu instid0(VALU_DEP_4) | instskip(SKIP_2) | instid1(VALU_DEP_2)
	v_pack_b32_f16 v32, v34, v32
	v_fmamk_f16 v34, v31, 0x3aee, v5
	v_fmac_f16_e32 v5, 0xbaee, v31
	v_pack_b32_f16 v33, v33, v34
	scratch_load_b32 v34, off, off offset:356 th:TH_LOAD_LU ; 4-byte Folded Reload
	v_pack_b32_f16 v3, v6, v5
	s_wait_loadcnt 0x0
	ds_store_2addr_b32 v34, v32, v33 offset0:11 offset1:254
	v_lshrrev_b32_e32 v32, 16, v7
	v_add_f16_e32 v33, v28, v30
	s_delay_alu instid0(VALU_DEP_2) | instskip(NEXT) | instid1(VALU_DEP_2)
	v_add_f16_e32 v34, v32, v28
	v_fmac_f16_e32 v32, -0.5, v33
	v_add_f16_e32 v33, v7, v29
	v_sub_f16_e32 v28, v28, v30
	v_fma_f16 v7, -0.5, v36, v7
	s_delay_alu instid0(VALU_DEP_3) | instskip(SKIP_2) | instid1(VALU_DEP_4)
	v_add_f16_e32 v33, v33, v27
	v_sub_f16_e32 v27, v29, v27
	v_add_f16_e32 v29, v34, v30
	v_fmamk_f16 v30, v28, 0xbaee, v7
	v_fmac_f16_e32 v7, 0x3aee, v28
	s_delay_alu instid0(VALU_DEP_3) | instskip(SKIP_2) | instid1(VALU_DEP_2)
	v_pack_b32_f16 v29, v33, v29
	v_fmamk_f16 v33, v27, 0x3aee, v32
	v_fmac_f16_e32 v32, 0xbaee, v27
	v_pack_b32_f16 v30, v30, v33
	scratch_load_b32 v33, off, off offset:360 th:TH_LOAD_LU ; 4-byte Folded Reload
	s_wait_loadcnt 0x0
	ds_store_2addr_b32 v33, v29, v30 offset0:4 offset1:247
	v_add_f16_e32 v29, v23, v25
	v_lshrrev_b32_e32 v30, 16, v8
	v_add_f16_e32 v33, v8, v23
	v_sub_f16_e32 v23, v23, v25
	s_delay_alu instid0(VALU_DEP_4) | instskip(SKIP_3) | instid1(VALU_DEP_3)
	v_fmac_f16_e32 v8, -0.5, v29
	v_add_f16_e32 v29, v24, v26
	v_add_f16_e32 v34, v30, v24
	v_sub_f16_e32 v24, v24, v26
	v_fmac_f16_e32 v30, -0.5, v29
	s_delay_alu instid0(VALU_DEP_3) | instskip(SKIP_2) | instid1(VALU_DEP_2)
	v_add_f16_e32 v26, v34, v26
	v_add_f16_e32 v29, v33, v25
	;; [unrolled: 1-line block ×3, first 2 shown]
	v_pack_b32_f16 v25, v29, v26
	v_fmamk_f16 v26, v24, 0xbaee, v8
	v_fmamk_f16 v29, v23, 0x3aee, v30
	v_fmac_f16_e32 v8, 0x3aee, v24
	v_fmac_f16_e32 v30, 0xbaee, v23
	s_delay_alu instid0(VALU_DEP_3)
	v_pack_b32_f16 v26, v26, v29
	scratch_load_b32 v29, off, off offset:364 th:TH_LOAD_LU ; 4-byte Folded Reload
	v_pack_b32_f16 v5, v8, v30
	s_wait_loadcnt 0x0
	ds_store_2addr_b32 v29, v25, v26 offset0:5 offset1:248
	v_lshrrev_b32_e32 v25, 16, v9
	v_add_f16_e32 v26, v20, v22
	s_delay_alu instid0(VALU_DEP_2) | instskip(NEXT) | instid1(VALU_DEP_2)
	v_add_f16_e32 v29, v25, v20
	v_fmac_f16_e32 v25, -0.5, v26
	v_add_f16_e32 v26, v9, v21
	v_sub_f16_e32 v20, v20, v22
	v_fma_f16 v9, -0.5, v33, v9
	s_delay_alu instid0(VALU_DEP_3) | instskip(SKIP_2) | instid1(VALU_DEP_4)
	v_add_f16_e32 v26, v26, v19
	v_sub_f16_e32 v19, v21, v19
	v_add_f16_e32 v21, v29, v22
	v_fmamk_f16 v22, v20, 0xbaee, v9
	v_fmac_f16_e32 v9, 0x3aee, v20
	s_delay_alu instid0(VALU_DEP_3) | instskip(SKIP_2) | instid1(VALU_DEP_2)
	v_pack_b32_f16 v21, v26, v21
	v_fmamk_f16 v26, v19, 0x3aee, v25
	v_fmac_f16_e32 v25, 0xbaee, v19
	v_pack_b32_f16 v22, v22, v26
	scratch_load_b32 v26, off, off offset:368 th:TH_LOAD_LU ; 4-byte Folded Reload
	s_wait_loadcnt 0x0
	ds_store_2addr_b32 v26, v21, v22 offset0:6 offset1:249
	v_add_f16_e32 v21, v15, v17
	v_lshrrev_b32_e32 v22, 16, v10
	v_add_f16_e32 v26, v10, v15
	v_sub_f16_e32 v15, v15, v17
	s_delay_alu instid0(VALU_DEP_4) | instskip(SKIP_3) | instid1(VALU_DEP_3)
	v_fmac_f16_e32 v10, -0.5, v21
	v_add_f16_e32 v21, v16, v18
	v_add_f16_e32 v29, v22, v16
	v_sub_f16_e32 v16, v16, v18
	v_fmac_f16_e32 v22, -0.5, v21
	s_delay_alu instid0(VALU_DEP_3) | instskip(SKIP_1) | instid1(VALU_DEP_1)
	v_add_f16_e32 v18, v29, v18
	v_add_f16_e32 v21, v26, v17
	v_pack_b32_f16 v17, v21, v18
	v_fmamk_f16 v18, v16, 0xbaee, v10
	v_fmamk_f16 v21, v15, 0x3aee, v22
	v_fmac_f16_e32 v10, 0x3aee, v16
	v_fmac_f16_e32 v22, 0xbaee, v15
	s_delay_alu instid0(VALU_DEP_3)
	v_pack_b32_f16 v18, v18, v21
	scratch_load_b32 v21, off, off offset:372 th:TH_LOAD_LU ; 4-byte Folded Reload
	v_pack_b32_f16 v6, v10, v22
	s_wait_loadcnt 0x0
	ds_store_2addr_b32 v21, v17, v18 offset0:7 offset1:250
	v_add_f16_e32 v17, v1, v13
	v_lshrrev_b32_e32 v18, 16, v2
	v_add_f16_e32 v21, v2, v1
	v_sub_f16_e32 v1, v1, v13
	s_delay_alu instid0(VALU_DEP_4) | instskip(SKIP_3) | instid1(VALU_DEP_3)
	v_fmac_f16_e32 v2, -0.5, v17
	v_add_f16_e32 v17, v12, v14
	v_add_f16_e32 v26, v18, v12
	v_sub_f16_e32 v12, v12, v14
	v_fmac_f16_e32 v18, -0.5, v17
	s_delay_alu instid0(VALU_DEP_3) | instskip(SKIP_1) | instid1(VALU_DEP_1)
	v_add_f16_e32 v14, v26, v14
	v_add_f16_e32 v17, v21, v13
	v_pack_b32_f16 v13, v17, v14
	v_fmamk_f16 v14, v12, 0xbaee, v2
	v_fmamk_f16 v17, v1, 0x3aee, v18
	v_fmac_f16_e32 v2, 0x3aee, v12
	v_fmac_f16_e32 v18, 0xbaee, v1
	s_delay_alu instid0(VALU_DEP_3)
	v_pack_b32_f16 v14, v14, v17
	scratch_load_b32 v17, off, off offset:380 th:TH_LOAD_LU ; 4-byte Folded Reload
	v_pack_b32_f16 v1, v2, v18
	scratch_load_b32 v2, off, off offset:408 th:TH_LOAD_LU ; 4-byte Folded Reload
	s_wait_loadcnt 0x1
	ds_store_2addr_b32 v17, v13, v14 offset0:8 offset1:251
	s_wait_loadcnt 0x0
	ds_store_b32 v2, v0 offset:7776
	scratch_load_b32 v2, off, off offset:400 th:TH_LOAD_LU ; 4-byte Folded Reload
	v_pack_b32_f16 v0, v7, v32
	s_wait_loadcnt 0x0
	ds_store_b32 v2, v3 offset:10692
	scratch_load_b32 v2, off, off offset:404 th:TH_LOAD_LU ; 4-byte Folded Reload
	s_wait_loadcnt 0x0
	ds_store_b32 v2, v0 offset:13608
	scratch_load_b32 v2, off, off offset:384 th:TH_LOAD_LU ; 4-byte Folded Reload
	v_pack_b32_f16 v0, v9, v25
	s_wait_loadcnt 0x0
	ds_store_b32 v2, v5 offset:16524
	scratch_load_b32 v2, off, off offset:388 th:TH_LOAD_LU ; 4-byte Folded Reload
	s_wait_loadcnt 0x0
	ds_store_b32 v2, v0 offset:19440
	scratch_load_b32 v0, off, off offset:392 th:TH_LOAD_LU ; 4-byte Folded Reload
	;; [unrolled: 3-line block ×3, first 2 shown]
	s_wait_loadcnt 0x0
	ds_store_b32 v0, v1 offset:25272
	global_wb scope:SCOPE_SE
	s_wait_dscnt 0x0
	s_barrier_signal -1
	s_barrier_wait -1
	global_inv scope:SCOPE_SE
	ds_load_2addr_b32 v[5:6], v139 offset1:243
	ds_load_2addr_b32 v[9:10], v142 offset0:8 offset1:251
	s_wait_dscnt 0x1
	v_lshrrev_b32_e32 v0, 16, v6
	v_mul_f16_e64 v1, v240, v6
	s_wait_dscnt 0x0
	v_mul_f16_e64 v11, v242, v9
	s_delay_alu instid0(VALU_DEP_3) | instskip(NEXT) | instid1(VALU_DEP_3)
	v_mul_f16_e64 v2, v240, v0
	v_fma_f16 v4, v108, v0, -v1
	ds_load_b32 v0, v120 offset:25272
	v_fmac_f16_e32 v2, v108, v6
	v_mul_f16_e64 v6, v163, v5
	s_wait_dscnt 0x0
	v_lshrrev_b32_e32 v3, 16, v0
	v_mul_f16_e64 v7, v162, v0
	s_delay_alu instid0(VALU_DEP_2) | instskip(NEXT) | instid1(VALU_DEP_2)
	v_mul_f16_e64 v1, v162, v3
	v_fma_f16 v3, v109, v3, -v7
	s_delay_alu instid0(VALU_DEP_2) | instskip(SKIP_1) | instid1(VALU_DEP_1)
	v_fmac_f16_e32 v1, v109, v0
	v_lshrrev_b32_e32 v0, 16, v5
	v_mul_f16_e64 v7, v163, v0
	v_fma_f16 v8, v106, v0, -v6
	v_lshrrev_b32_e32 v0, 16, v10
	v_mul_f16_e64 v6, v164, v10
	s_delay_alu instid0(VALU_DEP_4) | instskip(NEXT) | instid1(VALU_DEP_3)
	v_fmac_f16_e32 v7, v106, v5
	v_mul_f16_e64 v5, v164, v0
	s_delay_alu instid0(VALU_DEP_3) | instskip(SKIP_1) | instid1(VALU_DEP_3)
	v_fma_f16 v6, v107, v0, -v6
	v_lshrrev_b32_e32 v0, 16, v9
	v_fmac_f16_e32 v5, v107, v10
	s_delay_alu instid0(VALU_DEP_2) | instskip(SKIP_1) | instid1(VALU_DEP_2)
	v_mul_f16_e64 v16, v242, v0
	v_fma_f16 v0, v105, v0, -v11
	v_fmac_f16_e32 v16, v105, v9
	ds_load_2addr_b32 v[9:10], v147 offset0:10 offset1:253
	s_wait_dscnt 0x0
	v_lshrrev_b32_e32 v12, 16, v10
	v_lshrrev_b32_e32 v11, 16, v9
	v_mul_f16_e64 v13, v241, v10
	s_delay_alu instid0(VALU_DEP_3) | instskip(NEXT) | instid1(VALU_DEP_3)
	v_mul_f16_e64 v17, v241, v12
	v_mul_f16_e64 v19, v228, v11
	s_delay_alu instid0(VALU_DEP_3) | instskip(SKIP_1) | instid1(VALU_DEP_4)
	v_fma_f16 v18, v104, v12, -v13
	v_mul_f16_e64 v12, v228, v9
	v_fmac_f16_e32 v17, v104, v10
	s_delay_alu instid0(VALU_DEP_4)
	v_fmac_f16_e32 v19, v90, v9
	ds_load_2addr_b32 v[9:10], v176 offset0:6 offset1:249
	v_fma_f16 v22, v90, v11, -v12
	ds_load_2addr_b32 v[11:12], v179 offset0:12 offset1:255
	s_wait_dscnt 0x1
	v_lshrrev_b32_e32 v13, 16, v10
	v_mul_f16_e64 v14, v228, v10
	s_delay_alu instid0(VALU_DEP_2) | instskip(NEXT) | instid1(VALU_DEP_2)
	v_mul_f16_e64 v20, v228, v13
	v_fma_f16 v21, v90, v13, -v14
	s_wait_dscnt 0x0
	v_lshrrev_b32_e32 v13, 16, v11
	v_mul_f16_e64 v14, v227, v11
	v_fmac_f16_e32 v20, v90, v10
	s_delay_alu instid0(VALU_DEP_3) | instskip(NEXT) | instid1(VALU_DEP_3)
	v_mul_f16_e64 v24, v227, v13
	v_fma_f16 v23, v91, v13, -v14
	ds_load_2addr_b32 v[13:14], v158 offset0:2 offset1:245
	v_fmac_f16_e32 v24, v91, v11
	ds_load_2addr_b32 v[10:11], v185 offset0:6 offset1:249
	s_wait_dscnt 0x1
	v_lshrrev_b32_e32 v15, 16, v14
	v_mul_f16_e64 v25, v227, v14
	v_lshrrev_b32_e32 v31, 16, v13
	v_mul_f16_e64 v33, v214, v13
	s_wait_dscnt 0x0
	v_mul_f16_e64 v29, v215, v10
	v_mul_f16_e64 v26, v227, v15
	v_fma_f16 v25, v91, v15, -v25
	v_lshrrev_b32_e32 v15, 16, v10
	v_mul_f16_e64 v32, v214, v31
	v_fma_f16 v31, v85, v31, -v33
	v_fmac_f16_e32 v26, v91, v14
	v_lshrrev_b32_e32 v14, 16, v12
	v_mul_f16_e64 v28, v215, v15
	v_fmac_f16_e32 v32, v85, v13
	v_lshrrev_b32_e32 v13, 16, v9
	v_fma_f16 v15, v83, v15, -v29
	v_mul_f16_e64 v27, v215, v14
	v_fmac_f16_e32 v28, v83, v10
	v_lshrrev_b32_e32 v10, 16, v11
	v_mul_f16_e64 v34, v218, v13
	s_delay_alu instid0(VALU_DEP_4) | instskip(SKIP_1) | instid1(VALU_DEP_4)
	v_fmac_f16_e32 v27, v83, v12
	v_mul_f16_e64 v12, v215, v12
	v_mul_f16_e64 v30, v214, v10
	s_delay_alu instid0(VALU_DEP_4) | instskip(SKIP_1) | instid1(VALU_DEP_3)
	v_fmac_f16_e32 v34, v84, v9
	v_mul_f16_e64 v9, v218, v9
	v_fmac_f16_e32 v30, v85, v11
	v_mul_f16_e64 v11, v214, v11
	s_delay_alu instid0(VALU_DEP_3) | instskip(NEXT) | instid1(VALU_DEP_2)
	v_fma_f16 v13, v84, v13, -v9
	v_fma_f16 v35, v85, v10, -v11
	ds_load_2addr_b32 v[9:10], v160 offset0:4 offset1:247
	s_wait_dscnt 0x0
	v_lshrrev_b32_e32 v11, 16, v10
	v_mul_f16_e64 v36, v218, v10
	v_mul_f16_e64 v38, v213, v9
	s_delay_alu instid0(VALU_DEP_3) | instskip(NEXT) | instid1(VALU_DEP_3)
	v_mul_f16_e64 v37, v218, v11
	v_fma_f16 v36, v84, v11, -v36
	v_lshrrev_b32_e32 v11, 16, v9
	s_delay_alu instid0(VALU_DEP_3) | instskip(NEXT) | instid1(VALU_DEP_2)
	v_fmac_f16_e32 v37, v84, v10
	v_mul_f16_e64 v33, v213, v11
	v_fma_f16 v29, v82, v11, -v38
	v_fma_f16 v38, v83, v14, -v12
	v_add_f16_e32 v12, v34, v30
	s_delay_alu instid0(VALU_DEP_4) | instskip(SKIP_4) | instid1(VALU_DEP_2)
	v_fmac_f16_e32 v33, v82, v9
	ds_load_2addr_b32 v[9:10], v186 offset0:8 offset1:251
	s_wait_dscnt 0x0
	v_lshrrev_b32_e32 v39, 16, v10
	v_mul_f16_e64 v40, v213, v10
	v_mul_f16_e64 v41, v213, v39
	s_delay_alu instid0(VALU_DEP_2) | instskip(NEXT) | instid1(VALU_DEP_2)
	v_fma_f16 v39, v82, v39, -v40
	v_fmac_f16_e32 v41, v82, v10
	ds_load_2addr_b32 v[10:11], v120 offset1:243
	s_wait_dscnt 0x0
	v_lshrrev_b32_e32 v14, 16, v11
	v_add_f16_e32 v40, v11, v34
	v_fmac_f16_e32 v11, -0.5, v12
	v_add_f16_e32 v12, v13, v35
	s_delay_alu instid0(VALU_DEP_4) | instskip(NEXT) | instid1(VALU_DEP_2)
	v_add_f16_e32 v42, v14, v13
	v_fmac_f16_e32 v14, -0.5, v12
	v_sub_f16_e32 v12, v13, v35
	v_add_f16_e32 v13, v39, v15
	s_delay_alu instid0(VALU_DEP_2) | instskip(SKIP_2) | instid1(VALU_DEP_1)
	v_fmamk_f16 v43, v12, 0xbaee, v11
	v_fmac_f16_e32 v11, 0x3aee, v12
	v_sub_f16_e32 v12, v34, v30
	v_fmamk_f16 v34, v12, 0x3aee, v14
	v_fmac_f16_e32 v14, 0xbaee, v12
	v_add_f16_e32 v12, v41, v28
	s_delay_alu instid0(VALU_DEP_2) | instskip(NEXT) | instid1(VALU_DEP_2)
	v_pack_b32_f16 v44, v11, v14
	v_fma_f16 v12, -0.5, v12, v10
	v_lshrrev_b32_e32 v11, 16, v10
	v_add_f16_e32 v10, v10, v41
	s_delay_alu instid0(VALU_DEP_2) | instskip(SKIP_1) | instid1(VALU_DEP_3)
	v_add_f16_e32 v14, v11, v39
	v_fmac_f16_e32 v11, -0.5, v13
	v_add_f16_e32 v10, v10, v28
	v_sub_f16_e32 v13, v41, v28
	v_sub_f16_e32 v28, v39, v15
	v_add_f16_e32 v14, v14, v15
	s_delay_alu instid0(VALU_DEP_3) | instskip(NEXT) | instid1(VALU_DEP_3)
	v_fmamk_f16 v15, v13, 0x3aee, v11
	v_fmamk_f16 v39, v28, 0xbaee, v12
	v_fmac_f16_e32 v12, 0x3aee, v28
	v_fmac_f16_e32 v11, 0xbaee, v13
	v_add_f16_e32 v13, v40, v30
	v_add_f16_e32 v28, v42, v35
	v_pack_b32_f16 v30, v39, v15
	v_pack_b32_f16 v35, v10, v14
	;; [unrolled: 1-line block ×3, first 2 shown]
	s_delay_alu instid0(VALU_DEP_4)
	v_pack_b32_f16 v28, v13, v28
	ds_load_2addr_b32 v[10:11], v171 offset0:6 offset1:249
	ds_load_2addr_b32 v[12:13], v157 offset0:12 offset1:255
	;; [unrolled: 1-line block ×3, first 2 shown]
	global_wb scope:SCOPE_SE
	s_wait_dscnt 0x0
	s_barrier_signal -1
	s_barrier_wait -1
	global_inv scope:SCOPE_SE
	ds_store_b32 v120, v30 offset:2916
	ds_store_b32 v120, v39 offset:5832
	ds_store_2addr_b32 v120, v35, v28 offset1:243
	v_add_f16_e32 v30, v21, v23
	v_lshrrev_b32_e32 v28, 16, v10
	s_delay_alu instid0(VALU_DEP_1) | instskip(NEXT) | instid1(VALU_DEP_3)
	v_add_f16_e32 v35, v28, v21
	v_fmac_f16_e32 v28, -0.5, v30
	v_sub_f16_e32 v21, v21, v23
	v_add_f16_e32 v30, v10, v20
	s_delay_alu instid0(VALU_DEP_4) | instskip(SKIP_2) | instid1(VALU_DEP_4)
	v_add_f16_e32 v23, v35, v23
	v_add_f16_e32 v35, v20, v24
	v_sub_f16_e32 v20, v20, v24
	v_add_f16_e32 v30, v30, v24
	v_pack_b32_f16 v24, v43, v34
	s_delay_alu instid0(VALU_DEP_4) | instskip(NEXT) | instid1(VALU_DEP_4)
	v_fma_f16 v10, -0.5, v35, v10
	v_fmamk_f16 v34, v20, 0x3aee, v28
	s_delay_alu instid0(VALU_DEP_4) | instskip(SKIP_1) | instid1(VALU_DEP_4)
	v_pack_b32_f16 v23, v30, v23
	v_fmac_f16_e32 v28, 0xbaee, v20
	v_fmamk_f16 v30, v21, 0xbaee, v10
	v_fmac_f16_e32 v10, 0x3aee, v21
	s_delay_alu instid0(VALU_DEP_2)
	v_pack_b32_f16 v30, v30, v34
	ds_store_b32 v120, v44 offset:6804
	ds_store_b32 v120, v23 offset:1944
	ds_store_2addr_b32 v157, v24, v30 offset0:12 offset1:255
	v_add_f16_e32 v23, v33, v27
	v_lshrrev_b32_e32 v24, 16, v11
	v_add_f16_e32 v30, v11, v33
	v_pack_b32_f16 v10, v10, v28
	s_delay_alu instid0(VALU_DEP_4) | instskip(SKIP_3) | instid1(VALU_DEP_3)
	v_fmac_f16_e32 v11, -0.5, v23
	v_add_f16_e32 v23, v29, v38
	v_add_f16_e32 v34, v24, v29
	;; [unrolled: 1-line block ×3, first 2 shown]
	v_fmac_f16_e32 v24, -0.5, v23
	v_sub_f16_e32 v23, v29, v38
	s_delay_alu instid0(VALU_DEP_4) | instskip(NEXT) | instid1(VALU_DEP_2)
	v_add_f16_e32 v21, v34, v38
	v_fmamk_f16 v29, v23, 0xbaee, v11
	v_fmac_f16_e32 v11, 0x3aee, v23
	v_sub_f16_e32 v23, v33, v27
	s_delay_alu instid0(VALU_DEP_4) | instskip(SKIP_1) | instid1(VALU_DEP_3)
	v_pack_b32_f16 v20, v20, v21
	v_sub_f16_e32 v27, v37, v32
	v_fmamk_f16 v33, v23, 0x3aee, v24
	v_fmac_f16_e32 v24, 0xbaee, v23
	ds_store_2addr_b32 v186, v10, v20 offset0:8 offset1:251
	v_lshrrev_b32_e32 v10, 16, v12
	v_add_f16_e32 v20, v36, v31
	v_add_f16_e32 v23, v37, v32
	v_pack_b32_f16 v11, v11, v24
	v_sub_f16_e32 v24, v36, v31
	v_add_f16_e32 v21, v10, v36
	v_fmac_f16_e32 v10, -0.5, v20
	v_fma_f16 v23, -0.5, v23, v12
	v_pack_b32_f16 v20, v29, v33
	v_add_f16_e32 v12, v12, v37
	s_delay_alu instid0(VALU_DEP_4) | instskip(NEXT) | instid1(VALU_DEP_4)
	v_fmamk_f16 v29, v27, 0x3aee, v10
	v_fmamk_f16 v28, v24, 0xbaee, v23
	v_fmac_f16_e32 v23, 0x3aee, v24
	s_delay_alu instid0(VALU_DEP_4) | instskip(SKIP_1) | instid1(VALU_DEP_4)
	v_add_f16_e32 v12, v12, v32
	v_fmac_f16_e32 v10, 0xbaee, v27
	v_pack_b32_f16 v28, v28, v29
	s_delay_alu instid0(VALU_DEP_2) | instskip(SKIP_3) | instid1(VALU_DEP_2)
	v_pack_b32_f16 v10, v23, v10
	ds_store_2addr_b32 v160, v20, v28 offset0:4 offset1:247
	v_add_f16_e32 v20, v21, v31
	v_lshrrev_b32_e32 v21, 16, v13
	v_pack_b32_f16 v12, v12, v20
	v_add_f16_e32 v20, v13, v19
	s_delay_alu instid0(VALU_DEP_3) | instskip(NEXT) | instid1(VALU_DEP_2)
	v_add_f16_e32 v28, v21, v22
	v_add_f16_e32 v20, v20, v26
	s_delay_alu instid0(VALU_DEP_2) | instskip(NEXT) | instid1(VALU_DEP_1)
	v_add_f16_e32 v28, v28, v25
	v_pack_b32_f16 v20, v20, v28
	ds_store_2addr_b32 v176, v12, v20 offset0:6 offset1:249
	v_add_f16_e32 v12, v19, v26
	v_sub_f16_e32 v20, v22, v25
	s_delay_alu instid0(VALU_DEP_2) | instskip(SKIP_1) | instid1(VALU_DEP_1)
	v_fmac_f16_e32 v13, -0.5, v12
	v_add_f16_e32 v12, v22, v25
	v_fmac_f16_e32 v21, -0.5, v12
	v_sub_f16_e32 v12, v19, v26
	s_delay_alu instid0(VALU_DEP_4) | instskip(SKIP_1) | instid1(VALU_DEP_3)
	v_fmamk_f16 v19, v20, 0xbaee, v13
	v_fmac_f16_e32 v13, 0x3aee, v20
	v_fmamk_f16 v22, v12, 0x3aee, v21
	v_fmac_f16_e32 v21, 0xbaee, v12
	s_delay_alu instid0(VALU_DEP_2)
	v_pack_b32_f16 v19, v19, v22
	ds_store_2addr_b32 v147, v19, v11 offset0:10 offset1:253
	v_pack_b32_f16 v11, v13, v21
	v_add_f16_e32 v13, v17, v16
	ds_store_2addr_b32 v139, v10, v11 offset1:243
	v_lshrrev_b32_e32 v10, 16, v14
	v_add_f16_e32 v11, v18, v0
	v_fma_f16 v13, -0.5, v13, v14
	s_delay_alu instid0(VALU_DEP_3) | instskip(NEXT) | instid1(VALU_DEP_3)
	v_add_f16_e32 v12, v10, v18
	v_fmac_f16_e32 v10, -0.5, v11
	v_add_f16_e32 v11, v14, v17
	v_sub_f16_e32 v14, v18, v0
	s_delay_alu instid0(VALU_DEP_4) | instskip(NEXT) | instid1(VALU_DEP_3)
	v_add_f16_e32 v0, v12, v0
	v_add_f16_e32 v11, v11, v16
	v_sub_f16_e32 v16, v17, v16
	s_delay_alu instid0(VALU_DEP_4)
	v_fmamk_f16 v17, v14, 0xbaee, v13
	v_fmac_f16_e32 v13, 0x3aee, v14
	v_add_f16_e32 v14, v9, v2
	v_pack_b32_f16 v0, v11, v0
	v_fmamk_f16 v12, v16, 0x3aee, v10
	v_fmac_f16_e32 v10, 0xbaee, v16
	s_delay_alu instid0(VALU_DEP_2) | instskip(NEXT) | instid1(VALU_DEP_2)
	v_pack_b32_f16 v11, v17, v12
	v_pack_b32_f16 v10, v13, v10
	ds_store_b32 v209, v0 offset:17496
	ds_store_b32 v209, v11 offset:20412
	;; [unrolled: 1-line block ×3, first 2 shown]
	v_add_f16_e32 v0, v7, v5
	v_lshrrev_b32_e32 v10, 16, v15
	v_add_f16_e32 v11, v15, v7
	v_lshrrev_b32_e32 v13, 16, v9
	s_delay_alu instid0(VALU_DEP_4) | instskip(SKIP_2) | instid1(VALU_DEP_2)
	v_fmac_f16_e32 v15, -0.5, v0
	v_add_f16_e32 v0, v8, v6
	v_add_f16_e32 v12, v10, v8
	v_fmac_f16_e32 v10, -0.5, v0
	v_sub_f16_e32 v0, v8, v6
	s_delay_alu instid0(VALU_DEP_3) | instskip(NEXT) | instid1(VALU_DEP_2)
	v_add_f16_e32 v6, v12, v6
	v_fmamk_f16 v8, v0, 0xbaee, v15
	v_fmac_f16_e32 v15, 0x3aee, v0
	v_sub_f16_e32 v0, v7, v5
	v_add_f16_e32 v5, v11, v5
	s_delay_alu instid0(VALU_DEP_2) | instskip(SKIP_1) | instid1(VALU_DEP_3)
	v_fmamk_f16 v7, v0, 0x3aee, v10
	v_fmac_f16_e32 v10, 0xbaee, v0
	v_pack_b32_f16 v5, v5, v6
	s_delay_alu instid0(VALU_DEP_3) | instskip(NEXT) | instid1(VALU_DEP_3)
	v_pack_b32_f16 v6, v8, v7
	v_pack_b32_f16 v0, v15, v10
	v_add_f16_e32 v10, v2, v1
	v_add_f16_e32 v15, v13, v4
	v_sub_f16_e32 v2, v2, v1
	ds_store_b32 v205, v5 offset:17496
	ds_store_b32 v205, v6 offset:20412
	;; [unrolled: 1-line block ×3, first 2 shown]
	v_add_f16_e32 v0, v14, v1
	v_fmac_f16_e32 v9, -0.5, v10
	v_add_f16_e32 v10, v4, v3
	v_sub_f16_e32 v4, v4, v3
	v_add_f16_e32 v1, v15, v3
	s_delay_alu instid0(VALU_DEP_3) | instskip(NEXT) | instid1(VALU_DEP_3)
	v_fmac_f16_e32 v13, -0.5, v10
	v_fmamk_f16 v10, v4, 0xbaee, v9
	v_fmac_f16_e32 v9, 0x3aee, v4
	s_delay_alu instid0(VALU_DEP_4) | instskip(NEXT) | instid1(VALU_DEP_4)
	v_pack_b32_f16 v0, v0, v1
	v_fmamk_f16 v4, v2, 0x3aee, v13
	v_fmac_f16_e32 v13, 0xbaee, v2
	s_delay_alu instid0(VALU_DEP_2) | instskip(NEXT) | instid1(VALU_DEP_2)
	v_pack_b32_f16 v1, v10, v4
	v_pack_b32_f16 v2, v9, v13
	ds_store_b32 v206, v0 offset:17496
	ds_store_b32 v206, v1 offset:20412
	;; [unrolled: 1-line block ×3, first 2 shown]
	global_wb scope:SCOPE_SE
	s_wait_dscnt 0x0
	s_barrier_signal -1
	s_barrier_wait -1
	global_inv scope:SCOPE_SE
	ds_load_2addr_b32 v[2:3], v139 offset1:243
	ds_load_b32 v4, v120 offset:25272
	ds_load_2addr_b32 v[45:46], v186 offset0:8 offset1:251
	s_wait_dscnt 0x2
	v_lshrrev_b32_e32 v0, 16, v3
	v_mul_f16_e64 v1, v249, v3
	s_wait_dscnt 0x1
	v_lshrrev_b32_e32 v5, 16, v4
	v_mul_f16_e64 v6, v248, v4
	s_wait_dscnt 0x0
	v_mul_f16_e64 v25, v153, v46
	v_mul_f16_e64 v44, v249, v0
	v_fma_f16 v0, v118, v0, -v1
	v_mul_f16_e64 v1, v248, v5
	v_fma_f16 v8, v119, v5, -v6
	s_delay_alu instid0(VALU_DEP_4) | instskip(SKIP_1) | instid1(VALU_DEP_4)
	v_fmac_f16_e32 v44, v118, v3
	v_lshrrev_b32_e32 v3, 16, v2
	v_fmac_f16_e32 v1, v119, v4
	v_mul_f16_e64 v4, v247, v2
	s_delay_alu instid0(VALU_DEP_3) | instskip(NEXT) | instid1(VALU_DEP_2)
	v_mul_f16_e64 v48, v247, v3
	v_fma_f16 v49, v116, v3, -v4
	s_delay_alu instid0(VALU_DEP_2) | instskip(SKIP_4) | instid1(VALU_DEP_2)
	v_fmac_f16_e32 v48, v116, v2
	ds_load_2addr_b32 v[2:3], v142 offset0:8 offset1:251
	s_wait_dscnt 0x0
	v_lshrrev_b32_e32 v4, 16, v3
	v_mul_f16_e64 v5, v246, v3
	v_mul_f16_e64 v9, v246, v4
	s_delay_alu instid0(VALU_DEP_2) | instskip(SKIP_2) | instid1(VALU_DEP_4)
	v_fma_f16 v10, v117, v4, -v5
	v_lshrrev_b32_e32 v4, 16, v2
	v_mul_f16_e64 v5, v165, v2
	v_fmac_f16_e32 v9, v117, v3
	s_delay_alu instid0(VALU_DEP_3) | instskip(NEXT) | instid1(VALU_DEP_3)
	v_mul_f16_e64 v11, v165, v4
	v_fma_f16 v12, v115, v4, -v5
	s_delay_alu instid0(VALU_DEP_2)
	v_fmac_f16_e32 v11, v115, v2
	ds_load_2addr_b32 v[2:3], v147 offset0:10 offset1:253
	s_wait_dscnt 0x0
	v_lshrrev_b32_e32 v6, 16, v3
	v_mul_f16_e64 v7, v245, v3
	v_mul_f16_e64 v4, v244, v2
	s_delay_alu instid0(VALU_DEP_3) | instskip(NEXT) | instid1(VALU_DEP_3)
	v_mul_f16_e64 v15, v245, v6
	v_fma_f16 v39, v114, v6, -v7
	s_delay_alu instid0(VALU_DEP_2) | instskip(SKIP_1) | instid1(VALU_DEP_2)
	v_fmac_f16_e32 v15, v114, v3
	v_lshrrev_b32_e32 v3, 16, v2
	v_sub_f16_e32 v47, v15, v11
	s_delay_alu instid0(VALU_DEP_2) | instskip(SKIP_1) | instid1(VALU_DEP_2)
	v_mul_f16_e64 v41, v244, v3
	v_fma_f16 v36, v112, v3, -v4
	v_fmac_f16_e32 v41, v112, v2
	ds_load_2addr_b32 v[2:3], v158 offset0:2 offset1:245
	s_wait_dscnt 0x0
	v_lshrrev_b32_e32 v4, 16, v3
	v_mul_f16_e64 v5, v243, v3
	s_delay_alu instid0(VALU_DEP_2) | instskip(NEXT) | instid1(VALU_DEP_2)
	v_mul_f16_e64 v13, v243, v4
	v_fma_f16 v14, v113, v4, -v5
	v_lshrrev_b32_e32 v4, 16, v2
	v_mul_f16_e64 v5, v239, v2
	s_delay_alu instid0(VALU_DEP_4) | instskip(NEXT) | instid1(VALU_DEP_3)
	v_fmac_f16_e32 v13, v113, v3
	v_mul_f16_e64 v16, v239, v4
	s_delay_alu instid0(VALU_DEP_3) | instskip(NEXT) | instid1(VALU_DEP_2)
	v_fma_f16 v17, v111, v4, -v5
	v_fmac_f16_e32 v16, v111, v2
	ds_load_2addr_b32 v[2:3], v160 offset0:4 offset1:247
	s_wait_dscnt 0x0
	v_lshrrev_b32_e32 v6, 16, v3
	v_mul_f16_e64 v7, v161, v3
	v_mul_f16_e64 v4, v231, v2
	s_delay_alu instid0(VALU_DEP_3) | instskip(NEXT) | instid1(VALU_DEP_3)
	v_mul_f16_e64 v18, v161, v6
	v_fma_f16 v33, v110, v6, -v7
	s_delay_alu instid0(VALU_DEP_2) | instskip(SKIP_1) | instid1(VALU_DEP_2)
	v_fmac_f16_e32 v18, v110, v3
	v_lshrrev_b32_e32 v3, 16, v2
	v_sub_f16_e32 v42, v18, v16
	s_delay_alu instid0(VALU_DEP_2) | instskip(SKIP_1) | instid1(VALU_DEP_2)
	v_mul_f16_e64 v35, v231, v3
	v_fma_f16 v30, v102, v3, -v4
	v_fmac_f16_e32 v35, v102, v2
	ds_load_2addr_b32 v[2:3], v179 offset0:12 offset1:255
	s_wait_dscnt 0x0
	v_lshrrev_b32_e32 v4, 16, v3
	v_mul_f16_e64 v5, v229, v3
	s_delay_alu instid0(VALU_DEP_2) | instskip(NEXT) | instid1(VALU_DEP_2)
	v_mul_f16_e64 v19, v229, v4
	v_fma_f16 v20, v103, v4, -v5
	v_lshrrev_b32_e32 v4, 16, v2
	v_mul_f16_e64 v5, v225, v2
	s_delay_alu instid0(VALU_DEP_4) | instskip(NEXT) | instid1(VALU_DEP_3)
	v_fmac_f16_e32 v19, v103, v3
	v_mul_f16_e64 v21, v225, v4
	s_delay_alu instid0(VALU_DEP_3) | instskip(NEXT) | instid1(VALU_DEP_2)
	v_fma_f16 v22, v99, v4, -v5
	v_fmac_f16_e32 v21, v99, v2
	ds_load_2addr_b32 v[2:3], v176 offset0:6 offset1:249
	s_wait_dscnt 0x0
	v_lshrrev_b32_e32 v6, 16, v3
	v_mul_f16_e64 v7, v223, v3
	v_mul_f16_e64 v5, v221, v2
	s_delay_alu instid0(VALU_DEP_3) | instskip(NEXT) | instid1(VALU_DEP_3)
	v_mul_f16_e64 v23, v223, v6
	v_fma_f16 v27, v98, v6, -v7
	s_delay_alu instid0(VALU_DEP_2) | instskip(SKIP_1) | instid1(VALU_DEP_1)
	v_fmac_f16_e32 v23, v98, v3
	v_lshrrev_b32_e32 v3, 16, v2
	v_mul_f16_e64 v4, v221, v3
	v_fma_f16 v5, v94, v3, -v5
	s_delay_alu instid0(VALU_DEP_2)
	v_fmac_f16_e32 v4, v94, v2
	ds_load_2addr_b32 v[2:3], v185 offset0:6 offset1:249
	s_wait_dscnt 0x0
	v_lshrrev_b32_e32 v6, 16, v3
	v_mul_f16_e64 v7, v154, v3
	v_mul_f16_e64 v24, v216, v2
	s_delay_alu instid0(VALU_DEP_3) | instskip(NEXT) | instid1(VALU_DEP_3)
	v_mul_f16_e64 v26, v154, v6
	v_fma_f16 v6, v95, v6, -v7
	s_delay_alu instid0(VALU_DEP_2) | instskip(SKIP_1) | instid1(VALU_DEP_1)
	v_fmac_f16_e32 v26, v95, v3
	v_lshrrev_b32_e32 v3, 16, v2
	v_mul_f16_e64 v7, v216, v3
	v_fma_f16 v31, v89, v3, -v24
	s_delay_alu instid0(VALU_DEP_4) | instskip(NEXT) | instid1(VALU_DEP_3)
	v_add_f16_e32 v24, v4, v26
	v_fmac_f16_e32 v7, v89, v2
	v_lshrrev_b32_e32 v2, 16, v46
	s_delay_alu instid0(VALU_DEP_1)
	v_mul_f16_e64 v28, v153, v2
	v_fma_f16 v29, v88, v2, -v25
	ds_load_2addr_b32 v[2:3], v120 offset1:243
	v_fmac_f16_e32 v28, v88, v46
	s_wait_dscnt 0x0
	v_lshrrev_b32_e32 v32, 16, v3
	v_add_f16_e32 v34, v3, v4
	v_fmac_f16_e32 v3, -0.5, v24
	v_add_f16_e32 v24, v5, v6
	v_sub_f16_e32 v4, v4, v26
	v_add_f16_e32 v37, v32, v5
	v_sub_f16_e32 v5, v5, v6
	v_add_f16_e32 v26, v34, v26
	v_fmac_f16_e32 v32, -0.5, v24
	v_sub_f16_e32 v34, v23, v21
	v_add_f16_e32 v6, v37, v6
	v_fmamk_f16 v24, v5, 0xbaee, v3
	v_fmac_f16_e32 v3, 0x3aee, v5
	v_fmamk_f16 v25, v4, 0x3aee, v32
	v_fmac_f16_e32 v32, 0xbaee, v4
	v_add_f16_e32 v4, v28, v7
	v_add_f16_e32 v5, v29, v31
	v_pack_b32_f16 v26, v26, v6
	s_delay_alu instid0(VALU_DEP_4) | instskip(NEXT) | instid1(VALU_DEP_4)
	v_pack_b32_f16 v32, v3, v32
	v_fma_f16 v4, -0.5, v4, v2
	v_lshrrev_b32_e32 v3, 16, v2
	v_add_f16_e32 v2, v2, v28
	s_delay_alu instid0(VALU_DEP_2) | instskip(SKIP_1) | instid1(VALU_DEP_3)
	v_add_f16_e32 v38, v3, v29
	v_fmac_f16_e32 v3, -0.5, v5
	v_add_f16_e32 v2, v2, v7
	v_sub_f16_e32 v5, v28, v7
	v_sub_f16_e32 v7, v29, v31
	s_delay_alu instid0(VALU_DEP_1) | instskip(SKIP_1) | instid1(VALU_DEP_4)
	v_fmamk_f16 v28, v7, 0xbaee, v4
	v_fmac_f16_e32 v4, 0x3aee, v7
	v_fmamk_f16 v7, v5, 0x3aee, v3
	v_fmac_f16_e32 v3, 0xbaee, v5
	v_add_f16_e32 v5, v38, v31
	s_delay_alu instid0(VALU_DEP_3) | instskip(NEXT) | instid1(VALU_DEP_3)
	v_pack_b32_f16 v7, v28, v7
	v_pack_b32_f16 v3, v4, v3
	s_delay_alu instid0(VALU_DEP_3)
	v_pack_b32_f16 v28, v2, v5
	ds_store_b32 v120, v7 offset:8748
	ds_store_b32 v120, v3 offset:17496
	ds_load_2addr_b32 v[2:3], v171 offset0:6 offset1:249
	ds_load_2addr_b32 v[4:5], v157 offset0:12 offset1:255
	;; [unrolled: 1-line block ×3, first 2 shown]
	ds_store_2addr_b32 v120, v28, v26 offset1:243
	v_add_f16_e32 v28, v27, v22
	s_wait_dscnt 0x3
	v_lshrrev_b32_e32 v29, 16, v2
	v_lshrrev_b32_e32 v37, 16, v3
	s_wait_dscnt 0x2
	v_lshrrev_b32_e32 v38, 16, v4
	s_wait_dscnt 0x1
	v_lshrrev_b32_e32 v43, 16, v6
	v_lshrrev_b32_e32 v50, 16, v7
	v_add_f16_e32 v26, v29, v27
	v_fmac_f16_e32 v29, -0.5, v28
	v_add_f16_e32 v28, v23, v21
	s_delay_alu instid0(VALU_DEP_1) | instskip(SKIP_1) | instid1(VALU_DEP_1)
	v_fma_f16 v31, -0.5, v28, v2
	v_sub_f16_e32 v28, v27, v22
	v_fmamk_f16 v27, v28, 0xbaee, v31
	v_fmac_f16_e32 v31, 0x3aee, v28
	v_fmamk_f16 v28, v34, 0x3aee, v29
	v_fmac_f16_e32 v29, 0xbaee, v34
	v_add_f16_e32 v34, v33, v17
	s_delay_alu instid0(VALU_DEP_2)
	v_pack_b32_f16 v29, v31, v29
	v_add_nc_u32_e32 v31, 0x4800, v120
	ds_store_2addr_b32 v31, v32, v29 offset0:9 offset1:252
	v_add_f16_e32 v31, v35, v19
	v_add_f16_e32 v29, v3, v35
	;; [unrolled: 1-line block ×3, first 2 shown]
	s_delay_alu instid0(VALU_DEP_3) | instskip(SKIP_1) | instid1(VALU_DEP_1)
	v_fmac_f16_e32 v3, -0.5, v31
	v_add_f16_e32 v31, v30, v20
	v_fmac_f16_e32 v37, -0.5, v31
	v_sub_f16_e32 v31, v30, v20
	s_delay_alu instid0(VALU_DEP_1) | instskip(SKIP_4) | instid1(VALU_DEP_1)
	v_fmamk_f16 v30, v31, 0xbaee, v3
	v_fmac_f16_e32 v3, 0x3aee, v31
	v_add_f16_e32 v31, v38, v33
	v_fmac_f16_e32 v38, -0.5, v34
	v_add_f16_e32 v34, v18, v16
	v_fma_f16 v40, -0.5, v34, v4
	v_sub_f16_e32 v34, v33, v17
	s_delay_alu instid0(VALU_DEP_1) | instskip(SKIP_4) | instid1(VALU_DEP_2)
	v_fmamk_f16 v33, v34, 0xbaee, v40
	v_fmac_f16_e32 v40, 0x3aee, v34
	v_fmamk_f16 v34, v42, 0x3aee, v38
	v_fmac_f16_e32 v38, 0xbaee, v42
	v_sub_f16_e32 v42, v35, v19
	v_pack_b32_f16 v38, v40, v38
	s_delay_alu instid0(VALU_DEP_2) | instskip(SKIP_3) | instid1(VALU_DEP_3)
	v_fmamk_f16 v35, v42, 0x3aee, v37
	v_fmac_f16_e32 v37, 0xbaee, v42
	v_lshrrev_b32_e32 v42, 16, v5
	v_add_f16_e32 v40, v39, v12
	v_pack_b32_f16 v3, v3, v37
	v_add_nc_u32_e32 v37, 0x4fa0, v120
	ds_store_2addr_b32 v37, v3, v38 offset0:7 offset1:250
	v_add_f16_e32 v37, v41, v13
	v_add_f16_e32 v3, v5, v41
	;; [unrolled: 1-line block ×3, first 2 shown]
	s_delay_alu instid0(VALU_DEP_3) | instskip(SKIP_1) | instid1(VALU_DEP_4)
	v_fmac_f16_e32 v5, -0.5, v37
	v_add_f16_e32 v37, v36, v14
	v_add_f16_e32 v3, v3, v13
	s_delay_alu instid0(VALU_DEP_2) | instskip(SKIP_1) | instid1(VALU_DEP_1)
	v_fmac_f16_e32 v42, -0.5, v37
	v_sub_f16_e32 v37, v36, v14
	v_fmamk_f16 v36, v37, 0xbaee, v5
	v_fmac_f16_e32 v5, 0x3aee, v37
	v_add_f16_e32 v37, v43, v39
	v_fmac_f16_e32 v43, -0.5, v40
	v_add_f16_e32 v40, v15, v11
	s_delay_alu instid0(VALU_DEP_1) | instskip(SKIP_1) | instid1(VALU_DEP_1)
	v_fma_f16 v46, -0.5, v40, v6
	v_sub_f16_e32 v40, v39, v12
	v_fmamk_f16 v39, v40, 0xbaee, v46
	v_fmac_f16_e32 v46, 0x3aee, v40
	v_fmamk_f16 v40, v47, 0x3aee, v43
	v_fmac_f16_e32 v43, 0xbaee, v47
	v_sub_f16_e32 v47, v41, v13
	s_delay_alu instid0(VALU_DEP_2) | instskip(NEXT) | instid1(VALU_DEP_2)
	v_pack_b32_f16 v43, v46, v43
	v_fmamk_f16 v41, v47, 0x3aee, v42
	v_fmac_f16_e32 v42, 0xbaee, v47
	v_lshrrev_b32_e32 v46, 16, v45
	v_add_f16_e32 v47, v50, v49
	s_delay_alu instid0(VALU_DEP_3)
	v_pack_b32_f16 v5, v5, v42
	v_add_nc_u32_e32 v42, 0x5740, v120
	ds_store_2addr_b32 v42, v5, v43 offset0:5 offset1:248
	v_add_f16_e32 v42, v44, v1
	v_add_f16_e32 v5, v45, v44
	;; [unrolled: 1-line block ×3, first 2 shown]
	s_delay_alu instid0(VALU_DEP_3) | instskip(SKIP_2) | instid1(VALU_DEP_4)
	v_fmac_f16_e32 v45, -0.5, v42
	v_add_f16_e32 v42, v46, v0
	v_sub_f16_e32 v0, v0, v8
	v_fmac_f16_e32 v46, -0.5, v43
	s_delay_alu instid0(VALU_DEP_2) | instskip(SKIP_2) | instid1(VALU_DEP_1)
	v_fmamk_f16 v43, v0, 0xbaee, v45
	v_fmac_f16_e32 v45, 0x3aee, v0
	v_sub_f16_e32 v0, v44, v1
	v_fmamk_f16 v44, v0, 0x3aee, v46
	v_fmac_f16_e32 v46, 0xbaee, v0
	s_delay_alu instid0(VALU_DEP_1) | instskip(SKIP_2) | instid1(VALU_DEP_2)
	v_pack_b32_f16 v0, v45, v46
	v_add_f16_e32 v46, v48, v9
	v_add_f16_e32 v45, v7, v48
	v_fmac_f16_e32 v7, -0.5, v46
	v_add_f16_e32 v46, v49, v10
	v_sub_f16_e32 v49, v49, v10
	s_delay_alu instid0(VALU_DEP_2) | instskip(NEXT) | instid1(VALU_DEP_2)
	v_fmac_f16_e32 v50, -0.5, v46
	v_fmamk_f16 v46, v49, 0xbaee, v7
	v_fmac_f16_e32 v7, 0x3aee, v49
	v_sub_f16_e32 v49, v48, v9
	s_delay_alu instid0(VALU_DEP_1) | instskip(SKIP_2) | instid1(VALU_DEP_2)
	v_fmamk_f16 v48, v49, 0x3aee, v50
	v_fmac_f16_e32 v50, 0xbaee, v49
	v_add_nc_u32_e32 v49, 0x5ec0, v120
	v_pack_b32_f16 v7, v7, v50
	ds_store_2addr_b32 v49, v7, v0 offset0:11 offset1:254
	scratch_load_b64 v[49:50], off, off offset:184 th:TH_LOAD_LU ; 8-byte Folded Reload
	s_wait_loadcnt 0x0
	v_mov_b32_e32 v7, v49
	s_delay_alu instid0(VALU_DEP_1) | instskip(NEXT) | instid1(VALU_DEP_1)
	v_mad_co_u64_u32 v[49:50], null, s10, v7, 0
	v_mov_b32_e32 v0, v50
	s_delay_alu instid0(VALU_DEP_1) | instskip(SKIP_3) | instid1(VALU_DEP_2)
	v_mad_co_u64_u32 v[50:51], null, s11, v7, v[0:1]
	v_mad_co_u64_u32 v[51:52], null, s8, v174, 0
	s_mov_b32 s10, 0x3fb013fb
	s_mov_b32 s11, 0x3f23fb01
	v_lshlrev_b64_e32 v[49:50], 2, v[49:50]
	s_delay_alu instid0(VALU_DEP_2) | instskip(NEXT) | instid1(VALU_DEP_1)
	v_mov_b32_e32 v0, v52
	v_mad_co_u64_u32 v[52:53], null, s9, v174, v[0:1]
	s_delay_alu instid0(VALU_DEP_3) | instskip(SKIP_1) | instid1(VALU_DEP_4)
	v_add_co_u32 v0, vcc_lo, s0, v49
	s_wait_alu 0xfffd
	v_add_co_ci_u32_e32 v7, vcc_lo, s1, v50, vcc_lo
	s_mul_u64 s[8:9], s[8:9], s[12:13]
	s_delay_alu instid0(VALU_DEP_3) | instskip(NEXT) | instid1(VALU_DEP_1)
	v_lshlrev_b64_e32 v[49:50], 2, v[51:52]
	v_add_co_u32 v49, vcc_lo, v0, v49
	s_wait_alu 0xfffd
	s_delay_alu instid0(VALU_DEP_2)
	v_add_co_ci_u32_e32 v50, vcc_lo, v7, v50, vcc_lo
	v_add_f16_e32 v0, v2, v23
	v_add_f16_e32 v2, v4, v18
	v_add_f16_e32 v4, v6, v15
	v_pack_b32_f16 v6, v24, v25
	v_pack_b32_f16 v7, v27, v28
	v_add_f16_e32 v0, v0, v21
	v_add_f16_e32 v15, v32, v20
	ds_store_2addr_b32 v176, v6, v7 offset0:6 offset1:249
	v_add_f16_e32 v6, v26, v22
	v_add_f16_e32 v7, v29, v19
	s_delay_alu instid0(VALU_DEP_2) | instskip(NEXT) | instid1(VALU_DEP_2)
	v_pack_b32_f16 v0, v0, v6
	v_pack_b32_f16 v6, v7, v15
	ds_store_2addr_b32 v171, v0, v6 offset0:6 offset1:249
	v_pack_b32_f16 v0, v30, v35
	v_pack_b32_f16 v6, v33, v34
	ds_store_2addr_b32 v160, v0, v6 offset0:4 offset1:247
	v_add_f16_e32 v0, v2, v16
	v_add_f16_e32 v2, v31, v17
	;; [unrolled: 1-line block ×3, first 2 shown]
	s_delay_alu instid0(VALU_DEP_2) | instskip(NEXT) | instid1(VALU_DEP_2)
	v_pack_b32_f16 v0, v0, v2
	v_pack_b32_f16 v2, v3, v6
	v_add_f16_e32 v3, v45, v9
	ds_store_2addr_b32 v157, v0, v2 offset0:12 offset1:255
	v_pack_b32_f16 v0, v36, v41
	v_pack_b32_f16 v2, v39, v40
	ds_store_2addr_b32 v147, v0, v2 offset0:10 offset1:253
	v_add_f16_e32 v0, v4, v11
	v_add_f16_e32 v2, v37, v12
	;; [unrolled: 1-line block ×3, first 2 shown]
	v_lshrrev_b32_e32 v10, 16, v177
	s_delay_alu instid0(VALU_DEP_3) | instskip(NEXT) | instid1(VALU_DEP_3)
	v_pack_b32_f16 v0, v0, v2
	v_pack_b32_f16 v2, v3, v4
	ds_store_2addr_b32 v141, v0, v2 offset0:2 offset1:245
	v_pack_b32_f16 v0, v46, v48
	v_pack_b32_f16 v2, v43, v44
	ds_store_2addr_b32 v139, v0, v2 offset1:243
	v_add_f16_e32 v0, v5, v1
	v_add_f16_e32 v1, v42, v8
	s_delay_alu instid0(VALU_DEP_1)
	v_pack_b32_f16 v0, v0, v1
	ds_store_b32 v120, v0 offset:7776
	global_wb scope:SCOPE_SE
	s_wait_dscnt 0x0
	s_barrier_signal -1
	s_barrier_wait -1
	global_inv scope:SCOPE_SE
	s_clause 0x1
	scratch_load_b32 v28, off, off offset:200 th:TH_LOAD_LU
	scratch_load_b32 v29, off, off offset:204 th:TH_LOAD_LU
	ds_load_2addr_b32 v[2:3], v120 offset1:243
	s_clause 0xa
	scratch_load_b32 v26, off, off offset:192 th:TH_LOAD_LU
	scratch_load_b32 v27, off, off offset:196 th:TH_LOAD_LU
	;; [unrolled: 1-line block ×11, first 2 shown]
	s_wait_dscnt 0x0
	v_lshrrev_b32_e32 v9, 16, v2
	v_mul_f16_e32 v0, v10, v2
	s_delay_alu instid0(VALU_DEP_1) | instskip(NEXT) | instid1(VALU_DEP_1)
	v_fma_f16 v0, v177, v9, -v0
	v_cvt_f32_f16_e32 v0, v0
	s_delay_alu instid0(VALU_DEP_1) | instskip(SKIP_1) | instid1(VALU_DEP_1)
	v_cvt_f64_f32_e32 v[0:1], v0
	s_wait_alu 0xfffe
	v_mul_f64_e32 v[4:5], s[10:11], v[0:1]
	s_delay_alu instid0(VALU_DEP_1) | instskip(SKIP_3) | instid1(VALU_DEP_4)
	v_and_or_b32 v0, 0x1ff, v5, v4
	v_lshrrev_b32_e32 v1, 8, v5
	v_bfe_u32 v14, v5, 20, 11
	v_lshrrev_b32_e32 v5, 16, v5
	v_cmp_ne_u32_e32 vcc_lo, 0, v0
	s_wait_alu 0xfffd
	v_cndmask_b32_e64 v0, 0, 1, vcc_lo
	s_delay_alu instid0(VALU_DEP_1) | instskip(SKIP_2) | instid1(VALU_DEP_3)
	v_and_or_b32 v13, 0xffe, v1, v0
	v_sub_nc_u32_e32 v0, 0x3f1, v14
	v_add_nc_u32_e32 v14, 0xfffffc10, v14
	v_or_b32_e32 v1, 0x1000, v13
	s_delay_alu instid0(VALU_DEP_3) | instskip(NEXT) | instid1(VALU_DEP_1)
	v_med3_i32 v0, v0, 0, 13
	v_lshrrev_b32_e32 v15, v0, v1
	s_delay_alu instid0(VALU_DEP_1) | instskip(NEXT) | instid1(VALU_DEP_1)
	v_lshlrev_b32_e32 v0, v0, v15
	v_cmp_ne_u32_e32 vcc_lo, v0, v1
	ds_load_2addr_b32 v[0:1], v186 offset0:8 offset1:251
	s_wait_dscnt 0x0
	v_lshrrev_b32_e32 v16, 16, v1
	s_wait_loadcnt 0xc
	v_mul_f16_e32 v4, v28, v1
	s_wait_loadcnt 0xb
	s_delay_alu instid0(VALU_DEP_1) | instskip(NEXT) | instid1(VALU_DEP_1)
	v_fma_f16 v4, v29, v16, -v4
	v_cvt_f32_f16_e32 v4, v4
	s_delay_alu instid0(VALU_DEP_1) | instskip(NEXT) | instid1(VALU_DEP_1)
	v_cvt_f64_f32_e32 v[6:7], v4
	v_mul_f64_e32 v[7:8], s[10:11], v[6:7]
	s_delay_alu instid0(VALU_DEP_1) | instskip(SKIP_2) | instid1(VALU_DEP_3)
	v_and_or_b32 v4, 0x1ff, v8, v7
	v_lshrrev_b32_e32 v6, 8, v8
	v_bfe_u32 v17, v8, 20, 11
	v_cmp_ne_u32_e64 s0, 0, v4
	s_wait_alu 0xf1ff
	s_delay_alu instid0(VALU_DEP_1) | instskip(NEXT) | instid1(VALU_DEP_1)
	v_cndmask_b32_e64 v4, 0, 1, s0
	v_and_or_b32 v6, 0xffe, v6, v4
	v_sub_nc_u32_e32 v4, 0x3f1, v17
	v_add_nc_u32_e32 v17, 0xfffffc10, v17
	s_delay_alu instid0(VALU_DEP_3) | instskip(NEXT) | instid1(VALU_DEP_3)
	v_or_b32_e32 v7, 0x1000, v6
	v_med3_i32 v4, v4, 0, 13
	s_delay_alu instid0(VALU_DEP_1) | instskip(NEXT) | instid1(VALU_DEP_1)
	v_lshrrev_b32_e32 v18, v4, v7
	v_lshlrev_b32_e32 v4, v4, v18
	s_delay_alu instid0(VALU_DEP_1) | instskip(SKIP_3) | instid1(VALU_DEP_3)
	v_cmp_ne_u32_e64 s1, v4, v7
	v_mul_f16_e32 v7, v10, v9
	v_lshrrev_b32_e32 v4, 16, v3
	v_lshrrev_b32_e32 v9, 16, v178
	v_fmac_f16_e64 v7, v177, v2
	s_delay_alu instid0(VALU_DEP_2) | instskip(SKIP_1) | instid1(VALU_DEP_2)
	v_mul_f16_e32 v2, v9, v4
	v_mul_f16_e32 v9, v9, v3
	v_fmac_f16_e64 v2, v178, v3
	s_delay_alu instid0(VALU_DEP_2)
	v_fma_f16 v19, v178, v4, -v9
	ds_load_2addr_b32 v[9:10], v185 offset0:6 offset1:249
	s_wait_dscnt 0x0
	v_lshrrev_b32_e32 v20, 16, v9
	s_wait_loadcnt 0xa
	v_mul_f16_e32 v3, v26, v9
	s_wait_loadcnt 0x9
	s_delay_alu instid0(VALU_DEP_1) | instskip(NEXT) | instid1(VALU_DEP_1)
	v_fma_f16 v3, v27, v20, -v3
	v_cvt_f32_f16_e32 v3, v3
	s_delay_alu instid0(VALU_DEP_1) | instskip(NEXT) | instid1(VALU_DEP_1)
	v_cvt_f64_f32_e32 v[3:4], v3
	v_mul_f64_e32 v[11:12], s[10:11], v[3:4]
	s_delay_alu instid0(VALU_DEP_1) | instskip(SKIP_2) | instid1(VALU_DEP_3)
	v_and_or_b32 v3, 0x1ff, v12, v11
	v_lshrrev_b32_e32 v4, 8, v12
	v_bfe_u32 v21, v12, 20, 11
	v_cmp_ne_u32_e64 s0, 0, v3
	s_wait_alu 0xf1ff
	s_delay_alu instid0(VALU_DEP_1) | instskip(NEXT) | instid1(VALU_DEP_1)
	v_cndmask_b32_e64 v3, 0, 1, s0
	v_and_or_b32 v11, 0xffe, v4, v3
	v_sub_nc_u32_e32 v3, 0x3f1, v21
	s_delay_alu instid0(VALU_DEP_2) | instskip(NEXT) | instid1(VALU_DEP_2)
	v_or_b32_e32 v4, 0x1000, v11
	v_med3_i32 v3, v3, 0, 13
	s_delay_alu instid0(VALU_DEP_1) | instskip(NEXT) | instid1(VALU_DEP_1)
	v_lshrrev_b32_e32 v22, v3, v4
	v_lshlrev_b32_e32 v3, v3, v22
	s_delay_alu instid0(VALU_DEP_1) | instskip(SKIP_1) | instid1(VALU_DEP_1)
	v_cmp_ne_u32_e64 s0, v3, v4
	v_cvt_f32_f16_e32 v3, v7
	v_cvt_f64_f32_e32 v[3:4], v3
	s_delay_alu instid0(VALU_DEP_1) | instskip(NEXT) | instid1(VALU_DEP_1)
	v_mul_f64_e32 v[3:4], s[10:11], v[3:4]
	v_and_or_b32 v3, 0x1ff, v4, v3
	v_lshrrev_b32_e32 v7, 8, v4
	s_delay_alu instid0(VALU_DEP_2) | instskip(SKIP_1) | instid1(VALU_DEP_1)
	v_cmp_ne_u32_e64 s2, 0, v3
	s_wait_alu 0xf1ff
	v_cndmask_b32_e64 v3, 0, 1, s2
	s_delay_alu instid0(VALU_DEP_1) | instskip(SKIP_2) | instid1(VALU_DEP_3)
	v_and_or_b32 v3, 0xffe, v7, v3
	v_bfe_u32 v7, v4, 20, 11
	v_lshrrev_b32_e32 v4, 16, v4
	v_or_b32_e32 v24, 0x1000, v3
	s_delay_alu instid0(VALU_DEP_3) | instskip(SKIP_2) | instid1(VALU_DEP_3)
	v_sub_nc_u32_e32 v23, 0x3f1, v7
	v_add_nc_u32_e32 v7, 0xfffffc10, v7
	v_cmp_ne_u32_e64 s3, 0, v3
	v_med3_i32 v23, v23, 0, 13
	s_delay_alu instid0(VALU_DEP_1) | instskip(NEXT) | instid1(VALU_DEP_1)
	v_lshrrev_b32_e32 v25, v23, v24
	v_lshlrev_b32_e32 v23, v23, v25
	s_delay_alu instid0(VALU_DEP_1) | instskip(SKIP_2) | instid1(VALU_DEP_2)
	v_cmp_ne_u32_e64 s2, v23, v24
	v_lshl_or_b32 v24, v7, 12, v3
	s_wait_alu 0xf1ff
	v_cndmask_b32_e64 v23, 0, 1, s2
	v_cmp_gt_i32_e64 s2, 1, v7
	s_delay_alu instid0(VALU_DEP_2) | instskip(SKIP_1) | instid1(VALU_DEP_1)
	v_or_b32_e32 v23, v25, v23
	s_wait_alu 0xf1ff
	v_cndmask_b32_e64 v23, v24, v23, s2
	s_wait_alu 0xfffd
	v_cndmask_b32_e64 v24, 0, 1, vcc_lo
	v_cmp_gt_i32_e32 vcc_lo, 1, v14
	s_delay_alu instid0(VALU_DEP_2) | instskip(SKIP_2) | instid1(VALU_DEP_1)
	v_or_b32_e32 v15, v15, v24
	v_lshl_or_b32 v24, v14, 12, v13
	s_wait_alu 0xfffd
	v_cndmask_b32_e32 v15, v24, v15, vcc_lo
	v_and_b32_e32 v24, 7, v23
	s_delay_alu instid0(VALU_DEP_2) | instskip(NEXT) | instid1(VALU_DEP_2)
	v_and_b32_e32 v3, 7, v15
	v_cmp_lt_i32_e32 vcc_lo, 5, v24
	v_cmp_eq_u32_e64 s2, 3, v24
	s_delay_alu instid0(VALU_DEP_3) | instskip(SKIP_2) | instid1(VALU_DEP_4)
	v_cmp_lt_i32_e64 s4, 5, v3
	v_cmp_eq_u32_e64 s5, 3, v3
	v_lshrrev_b32_e32 v3, 2, v23
	s_or_b32 vcc_lo, s2, vcc_lo
	v_cndmask_b32_e64 v23, 0, 1, s3
	s_delay_alu instid0(VALU_DEP_3)
	s_or_b32 s2, s5, s4
	s_wait_alu 0xfffe
	v_add_co_ci_u32_e32 v3, vcc_lo, 0, v3, vcc_lo
	v_cmp_gt_i32_e32 vcc_lo, 31, v7
	v_lshl_or_b32 v23, v23, 9, 0x7c00
	s_wait_alu 0xfffd
	s_delay_alu instid0(VALU_DEP_3) | instskip(SKIP_3) | instid1(VALU_DEP_3)
	v_cndmask_b32_e32 v3, 0x7c00, v3, vcc_lo
	v_cmp_eq_u32_e32 vcc_lo, 0x40f, v7
	v_lshrrev_b32_e32 v7, 2, v15
	s_wait_alu 0xfffd
	v_cndmask_b32_e32 v3, v3, v23, vcc_lo
	v_cmp_ne_u32_e32 vcc_lo, 0, v13
	s_delay_alu instid0(VALU_DEP_3) | instskip(SKIP_1) | instid1(VALU_DEP_4)
	v_add_co_ci_u32_e64 v7, s2, 0, v7, s2
	v_cmp_gt_i32_e64 s2, 31, v14
	v_and_or_b32 v3, 0x8000, v4, v3
	s_wait_alu 0xfffd
	v_cndmask_b32_e64 v13, 0, 1, vcc_lo
	v_cmp_eq_u32_e32 vcc_lo, 0x40f, v14
	s_wait_alu 0xf1ff
	v_cndmask_b32_e64 v7, 0x7c00, v7, s2
	v_and_b32_e32 v3, 0xffff, v3
	v_lshl_or_b32 v13, v13, 9, 0x7c00
	s_wait_alu 0xfffd
	s_delay_alu instid0(VALU_DEP_1) | instskip(SKIP_3) | instid1(VALU_DEP_3)
	v_cndmask_b32_e32 v7, v7, v13, vcc_lo
	v_add_co_u32 v13, vcc_lo, v49, s14
	s_wait_alu 0xfffd
	v_add_co_ci_u32_e32 v14, vcc_lo, s15, v50, vcc_lo
	v_and_or_b32 v4, 0x8000, v5, v7
	s_delay_alu instid0(VALU_DEP_1) | instskip(SKIP_2) | instid1(VALU_DEP_1)
	v_lshl_or_b32 v3, v4, 16, v3
	global_store_b32 v[49:50], v3, off
	v_cvt_f32_f16_e32 v3, v19
	v_cvt_f64_f32_e32 v[3:4], v3
	s_delay_alu instid0(VALU_DEP_1) | instskip(NEXT) | instid1(VALU_DEP_1)
	v_mul_f64_e32 v[4:5], s[10:11], v[3:4]
	v_and_or_b32 v3, 0x1ff, v5, v4
	v_lshrrev_b32_e32 v4, 8, v5
	v_bfe_u32 v15, v5, 20, 11
	v_lshrrev_b32_e32 v5, 16, v5
	s_delay_alu instid0(VALU_DEP_4) | instskip(SKIP_2) | instid1(VALU_DEP_1)
	v_cmp_ne_u32_e32 vcc_lo, 0, v3
	s_wait_alu 0xfffd
	v_cndmask_b32_e64 v3, 0, 1, vcc_lo
	v_and_or_b32 v7, 0xffe, v4, v3
	v_sub_nc_u32_e32 v3, 0x3f1, v15
	s_delay_alu instid0(VALU_DEP_2) | instskip(NEXT) | instid1(VALU_DEP_2)
	v_or_b32_e32 v4, 0x1000, v7
	v_med3_i32 v3, v3, 0, 13
	s_delay_alu instid0(VALU_DEP_1) | instskip(NEXT) | instid1(VALU_DEP_1)
	v_lshrrev_b32_e32 v19, v3, v4
	v_lshlrev_b32_e32 v3, v3, v19
	s_delay_alu instid0(VALU_DEP_1) | instskip(SKIP_1) | instid1(VALU_DEP_1)
	v_cmp_ne_u32_e32 vcc_lo, v3, v4
	v_mul_f16_e32 v3, v28, v16
	v_fmac_f16_e32 v3, v29, v1
	s_delay_alu instid0(VALU_DEP_1) | instskip(NEXT) | instid1(VALU_DEP_1)
	v_cvt_f32_f16_e32 v1, v3
	v_cvt_f64_f32_e32 v[3:4], v1
	s_delay_alu instid0(VALU_DEP_1) | instskip(NEXT) | instid1(VALU_DEP_1)
	v_mul_f64_e32 v[3:4], s[10:11], v[3:4]
	v_and_or_b32 v1, 0x1ff, v4, v3
	v_lshrrev_b32_e32 v3, 8, v4
	s_delay_alu instid0(VALU_DEP_2) | instskip(SKIP_1) | instid1(VALU_DEP_1)
	v_cmp_ne_u32_e64 s2, 0, v1
	s_wait_alu 0xf1ff
	v_cndmask_b32_e64 v1, 0, 1, s2
	s_delay_alu instid0(VALU_DEP_1) | instskip(SKIP_1) | instid1(VALU_DEP_2)
	v_and_or_b32 v1, 0xffe, v3, v1
	v_bfe_u32 v3, v4, 20, 11
	v_or_b32_e32 v23, 0x1000, v1
	s_delay_alu instid0(VALU_DEP_2) | instskip(SKIP_2) | instid1(VALU_DEP_3)
	v_sub_nc_u32_e32 v16, 0x3f1, v3
	v_add_nc_u32_e32 v3, 0xfffffc10, v3
	v_cmp_ne_u32_e64 s3, 0, v1
	v_med3_i32 v16, v16, 0, 13
	s_delay_alu instid0(VALU_DEP_1) | instskip(NEXT) | instid1(VALU_DEP_1)
	v_lshrrev_b32_e32 v24, v16, v23
	v_lshlrev_b32_e32 v16, v16, v24
	s_delay_alu instid0(VALU_DEP_1) | instskip(SKIP_2) | instid1(VALU_DEP_2)
	v_cmp_ne_u32_e64 s2, v16, v23
	v_lshl_or_b32 v23, v3, 12, v1
	s_wait_alu 0xf1ff
	v_cndmask_b32_e64 v16, 0, 1, s2
	v_cmp_gt_i32_e64 s2, 1, v3
	s_delay_alu instid0(VALU_DEP_2) | instskip(SKIP_1) | instid1(VALU_DEP_1)
	v_or_b32_e32 v16, v24, v16
	s_wait_alu 0xf1ff
	v_cndmask_b32_e64 v16, v23, v16, s2
	v_cndmask_b32_e64 v23, 0, 1, s1
	v_cmp_gt_i32_e64 s1, 1, v17
	s_delay_alu instid0(VALU_DEP_2) | instskip(SKIP_2) | instid1(VALU_DEP_1)
	v_or_b32_e32 v18, v18, v23
	v_lshl_or_b32 v23, v17, 12, v6
	s_wait_alu 0xf1ff
	v_cndmask_b32_e64 v18, v23, v18, s1
	v_and_b32_e32 v23, 7, v16
	s_delay_alu instid0(VALU_DEP_2) | instskip(NEXT) | instid1(VALU_DEP_2)
	v_and_b32_e32 v1, 7, v18
	v_cmp_lt_i32_e64 s1, 5, v23
	v_cmp_eq_u32_e64 s2, 3, v23
	scratch_load_b32 v23, off, off offset:172 th:TH_LOAD_LU ; 4-byte Folded Reload
	v_cmp_lt_i32_e64 s4, 5, v1
	v_cmp_eq_u32_e64 s5, 3, v1
	v_lshrrev_b32_e32 v1, 2, v16
	s_or_b32 s1, s2, s1
	v_cndmask_b32_e64 v16, 0, 1, s3
	s_delay_alu instid0(VALU_DEP_3)
	s_or_b32 s2, s5, s4
	s_wait_alu 0xfffe
	v_add_co_ci_u32_e64 v1, s1, 0, v1, s1
	v_cmp_gt_i32_e64 s1, 31, v3
	v_lshl_or_b32 v16, v16, 9, 0x7c00
	s_wait_alu 0xf1ff
	s_delay_alu instid0(VALU_DEP_2) | instskip(SKIP_4) | instid1(VALU_DEP_3)
	v_cndmask_b32_e64 v1, 0x7c00, v1, s1
	v_cmp_eq_u32_e64 s1, 0x40f, v3
	v_lshrrev_b32_e32 v3, 16, v4
	v_lshrrev_b32_e32 v4, 2, v18
	s_wait_alu 0xf1ff
	v_cndmask_b32_e64 v1, v1, v16, s1
	v_cmp_ne_u32_e64 s1, 0, v6
	s_delay_alu instid0(VALU_DEP_3) | instskip(SKIP_1) | instid1(VALU_DEP_4)
	v_add_co_ci_u32_e64 v4, s2, 0, v4, s2
	v_cmp_gt_i32_e64 s2, 31, v17
	v_and_or_b32 v1, 0x8000, v3, v1
	s_wait_alu 0xf1ff
	v_cndmask_b32_e64 v6, 0, 1, s1
	v_cmp_eq_u32_e64 s1, 0x40f, v17
	v_cndmask_b32_e64 v4, 0x7c00, v4, s2
	v_and_b32_e32 v1, 0xffff, v1
	s_delay_alu instid0(VALU_DEP_4) | instskip(SKIP_1) | instid1(VALU_DEP_1)
	v_lshl_or_b32 v6, v6, 9, 0x7c00
	s_wait_alu 0xf1ff
	v_cndmask_b32_e64 v4, v4, v6, s1
	v_lshrrev_b32_e32 v6, 16, v8
	v_lshrrev_b32_e32 v8, 16, v10
	s_delay_alu instid0(VALU_DEP_2) | instskip(NEXT) | instid1(VALU_DEP_1)
	v_and_or_b32 v3, 0x8000, v6, v4
	v_lshl_or_b32 v1, v3, 16, v1
	v_add_co_u32 v3, s1, v13, s14
	s_wait_alu 0xf1ff
	v_add_co_ci_u32_e64 v4, s1, s15, v14, s1
	global_store_b32 v[13:14], v1, off
	v_mul_f16_e32 v1, v26, v20
	scratch_load_b32 v13, off, off offset:176 th:TH_LOAD_LU ; 4-byte Folded Reload
	v_fmac_f16_e32 v1, v27, v9
	scratch_load_b32 v9, off, off offset:180 th:TH_LOAD_LU ; 4-byte Folded Reload
	v_cvt_f32_f16_e32 v1, v1
	s_wait_loadcnt 0x0
	v_mul_f16_e32 v6, v9, v8
	v_mul_f16_e32 v9, v9, v10
	s_delay_alu instid0(VALU_DEP_2) | instskip(NEXT) | instid1(VALU_DEP_2)
	v_fmac_f16_e32 v6, v13, v10
	v_fma_f16 v16, v13, v8, -v9
	v_cvt_f64_f32_e32 v[8:9], v1
	s_delay_alu instid0(VALU_DEP_1) | instskip(NEXT) | instid1(VALU_DEP_1)
	v_mul_f64_e32 v[8:9], s[10:11], v[8:9]
	v_and_or_b32 v1, 0x1ff, v9, v8
	v_lshrrev_b32_e32 v8, 8, v9
	s_delay_alu instid0(VALU_DEP_2) | instskip(SKIP_1) | instid1(VALU_DEP_1)
	v_cmp_ne_u32_e64 s1, 0, v1
	s_wait_alu 0xf1ff
	v_cndmask_b32_e64 v1, 0, 1, s1
	s_delay_alu instid0(VALU_DEP_1) | instskip(SKIP_1) | instid1(VALU_DEP_2)
	v_and_or_b32 v1, 0xffe, v8, v1
	v_bfe_u32 v8, v9, 20, 11
	v_or_b32_e32 v13, 0x1000, v1
	s_delay_alu instid0(VALU_DEP_2) | instskip(SKIP_2) | instid1(VALU_DEP_3)
	v_sub_nc_u32_e32 v10, 0x3f1, v8
	v_add_nc_u32_e32 v8, 0xfffffc10, v8
	v_cmp_ne_u32_e64 s2, 0, v1
	v_med3_i32 v10, v10, 0, 13
	s_delay_alu instid0(VALU_DEP_1) | instskip(NEXT) | instid1(VALU_DEP_1)
	v_lshrrev_b32_e32 v14, v10, v13
	v_lshlrev_b32_e32 v10, v10, v14
	s_delay_alu instid0(VALU_DEP_1) | instskip(SKIP_2) | instid1(VALU_DEP_2)
	v_cmp_ne_u32_e64 s1, v10, v13
	v_lshl_or_b32 v13, v8, 12, v1
	s_wait_alu 0xf1ff
	v_cndmask_b32_e64 v10, 0, 1, s1
	v_cmp_gt_i32_e64 s1, 1, v8
	s_delay_alu instid0(VALU_DEP_2) | instskip(SKIP_2) | instid1(VALU_DEP_2)
	v_or_b32_e32 v10, v14, v10
	v_add_nc_u32_e32 v14, 0xfffffc10, v21
	s_wait_alu 0xf1ff
	v_cndmask_b32_e64 v10, v13, v10, s1
	v_cndmask_b32_e64 v13, 0, 1, s0
	s_delay_alu instid0(VALU_DEP_3) | instskip(SKIP_1) | instid1(VALU_DEP_3)
	v_lshl_or_b32 v17, v14, 12, v11
	v_cmp_gt_i32_e64 s0, 1, v14
	v_or_b32_e32 v13, v22, v13
	scratch_load_b32 v22, off, off offset:168 th:TH_LOAD_LU ; 4-byte Folded Reload
	s_wait_alu 0xf1ff
	v_cndmask_b32_e64 v13, v17, v13, s0
	v_and_b32_e32 v17, 7, v10
	s_delay_alu instid0(VALU_DEP_2) | instskip(NEXT) | instid1(VALU_DEP_2)
	v_and_b32_e32 v1, 7, v13
	v_cmp_lt_i32_e64 s0, 5, v17
	v_cmp_eq_u32_e64 s1, 3, v17
	s_delay_alu instid0(VALU_DEP_3) | instskip(SKIP_2) | instid1(VALU_DEP_4)
	v_cmp_lt_i32_e64 s3, 5, v1
	v_cmp_eq_u32_e64 s4, 3, v1
	v_lshrrev_b32_e32 v1, 2, v10
	s_or_b32 s0, s1, s0
	v_cndmask_b32_e64 v10, 0, 1, s2
	s_delay_alu instid0(VALU_DEP_3)
	s_or_b32 s1, s4, s3
	s_wait_alu 0xfffe
	v_add_co_ci_u32_e64 v1, s0, 0, v1, s0
	v_cmp_gt_i32_e64 s0, 31, v8
	v_lshl_or_b32 v10, v10, 9, 0x7c00
	s_wait_alu 0xf1ff
	s_delay_alu instid0(VALU_DEP_2) | instskip(SKIP_4) | instid1(VALU_DEP_3)
	v_cndmask_b32_e64 v1, 0x7c00, v1, s0
	v_cmp_eq_u32_e64 s0, 0x40f, v8
	v_lshrrev_b32_e32 v8, 16, v9
	v_lshrrev_b32_e32 v9, 2, v13
	s_wait_alu 0xf1ff
	v_cndmask_b32_e64 v1, v1, v10, s0
	v_cmp_ne_u32_e64 s0, 0, v11
	s_delay_alu instid0(VALU_DEP_3) | instskip(SKIP_1) | instid1(VALU_DEP_4)
	v_add_co_ci_u32_e64 v9, s1, 0, v9, s1
	v_cmp_gt_i32_e64 s1, 31, v14
	v_and_or_b32 v1, 0x8000, v8, v1
	s_wait_alu 0xf1ff
	v_cndmask_b32_e64 v10, 0, 1, s0
	v_cmp_eq_u32_e64 s0, 0x40f, v14
	ds_load_2addr_b32 v[13:14], v176 offset0:6 offset1:249
	v_cndmask_b32_e64 v9, 0x7c00, v9, s1
	v_and_b32_e32 v1, 0xffff, v1
	v_lshl_or_b32 v10, v10, 9, 0x7c00
	s_wait_alu 0xf1ff
	s_delay_alu instid0(VALU_DEP_1) | instskip(SKIP_4) | instid1(VALU_DEP_3)
	v_cndmask_b32_e64 v9, v9, v10, s0
	v_lshrrev_b32_e32 v10, 16, v12
	v_add_co_u32 v11, s0, v3, s8
	s_wait_alu 0xf1ff
	v_add_co_ci_u32_e64 v12, s0, s9, v4, s0
	v_and_or_b32 v8, 0x8000, v10, v9
	s_delay_alu instid0(VALU_DEP_1)
	v_lshl_or_b32 v1, v8, 16, v1
	s_wait_dscnt 0x0
	v_lshrrev_b32_e32 v8, 16, v13
	global_store_b32 v[3:4], v1, off
	s_wait_loadcnt 0x0
	v_mul_f16_e32 v1, v22, v13
	s_delay_alu instid0(VALU_DEP_1) | instskip(NEXT) | instid1(VALU_DEP_1)
	v_fma_f16 v1, v23, v8, -v1
	v_cvt_f32_f16_e32 v1, v1
	s_delay_alu instid0(VALU_DEP_1) | instskip(NEXT) | instid1(VALU_DEP_1)
	v_cvt_f64_f32_e32 v[3:4], v1
	v_mul_f64_e32 v[3:4], s[10:11], v[3:4]
	s_delay_alu instid0(VALU_DEP_1) | instskip(SKIP_3) | instid1(VALU_DEP_4)
	v_and_or_b32 v1, 0x1ff, v4, v3
	v_lshrrev_b32_e32 v3, 8, v4
	v_bfe_u32 v10, v4, 20, 11
	v_lshrrev_b32_e32 v4, 16, v4
	v_cmp_ne_u32_e64 s0, 0, v1
	s_wait_alu 0xf1ff
	s_delay_alu instid0(VALU_DEP_1) | instskip(NEXT) | instid1(VALU_DEP_1)
	v_cndmask_b32_e64 v1, 0, 1, s0
	v_and_or_b32 v9, 0xffe, v3, v1
	v_sub_nc_u32_e32 v1, 0x3f1, v10
	s_delay_alu instid0(VALU_DEP_2) | instskip(NEXT) | instid1(VALU_DEP_2)
	v_or_b32_e32 v3, 0x1000, v9
	v_med3_i32 v1, v1, 0, 13
	s_delay_alu instid0(VALU_DEP_1) | instskip(NEXT) | instid1(VALU_DEP_1)
	v_lshrrev_b32_e32 v26, v1, v3
	v_lshlrev_b32_e32 v1, v1, v26
	s_delay_alu instid0(VALU_DEP_1) | instskip(SKIP_1) | instid1(VALU_DEP_1)
	v_cmp_ne_u32_e64 s1, v1, v3
	v_cvt_f32_f16_e32 v1, v2
	v_cvt_f64_f32_e32 v[1:2], v1
	s_delay_alu instid0(VALU_DEP_1) | instskip(NEXT) | instid1(VALU_DEP_1)
	v_mul_f64_e32 v[1:2], s[10:11], v[1:2]
	v_and_or_b32 v1, 0x1ff, v2, v1
	v_lshrrev_b32_e32 v3, 8, v2
	s_delay_alu instid0(VALU_DEP_2) | instskip(SKIP_1) | instid1(VALU_DEP_1)
	v_cmp_ne_u32_e64 s0, 0, v1
	s_wait_alu 0xf1ff
	v_cndmask_b32_e64 v1, 0, 1, s0
	s_delay_alu instid0(VALU_DEP_1) | instskip(SKIP_2) | instid1(VALU_DEP_3)
	v_and_or_b32 v1, 0xffe, v3, v1
	v_bfe_u32 v3, v2, 20, 11
	v_lshrrev_b32_e32 v2, 16, v2
	v_or_b32_e32 v18, 0x1000, v1
	s_delay_alu instid0(VALU_DEP_3) | instskip(SKIP_1) | instid1(VALU_DEP_2)
	v_sub_nc_u32_e32 v17, 0x3f1, v3
	v_add_nc_u32_e32 v3, 0xfffffc10, v3
	v_med3_i32 v17, v17, 0, 13
	s_delay_alu instid0(VALU_DEP_1) | instskip(NEXT) | instid1(VALU_DEP_1)
	v_lshrrev_b32_e32 v20, v17, v18
	v_lshlrev_b32_e32 v17, v17, v20
	s_delay_alu instid0(VALU_DEP_1) | instskip(SKIP_2) | instid1(VALU_DEP_2)
	v_cmp_ne_u32_e64 s0, v17, v18
	v_lshl_or_b32 v18, v3, 12, v1
	s_wait_alu 0xf1ff
	v_cndmask_b32_e64 v17, 0, 1, s0
	v_cmp_gt_i32_e64 s0, 1, v3
	s_delay_alu instid0(VALU_DEP_2) | instskip(SKIP_1) | instid1(VALU_DEP_1)
	v_or_b32_e32 v17, v20, v17
	s_wait_alu 0xf1ff
	v_cndmask_b32_e64 v17, v18, v17, s0
	s_delay_alu instid0(VALU_DEP_1) | instskip(SKIP_1) | instid1(VALU_DEP_2)
	v_and_b32_e32 v18, 7, v17
	v_lshrrev_b32_e32 v17, 2, v17
	v_cmp_lt_i32_e64 s0, 5, v18
	v_cmp_eq_u32_e64 s2, 3, v18
	s_wait_alu 0xfffd
	v_cndmask_b32_e64 v18, 0, 1, vcc_lo
	v_cmp_ne_u32_e32 vcc_lo, 0, v1
	v_add_nc_u32_e32 v1, 0xfffffc10, v15
	s_or_b32 s0, s2, s0
	s_delay_alu instid0(VALU_DEP_3)
	v_or_b32_e32 v18, v19, v18
	s_wait_alu 0xfffe
	v_add_co_ci_u32_e64 v17, s0, 0, v17, s0
	v_lshl_or_b32 v15, v1, 12, v7
	v_cmp_gt_i32_e64 s3, 1, v1
	v_cmp_gt_i32_e64 s0, 31, v3
	v_cmp_ne_u32_e64 s2, 0, v7
	s_wait_alu 0xf1ff
	s_delay_alu instid0(VALU_DEP_3)
	v_cndmask_b32_e64 v15, v15, v18, s3
	s_wait_alu 0xfffd
	v_cndmask_b32_e64 v18, 0, 1, vcc_lo
	v_cndmask_b32_e64 v17, 0x7c00, v17, s0
	v_cmp_eq_u32_e32 vcc_lo, 0x40f, v3
	v_lshrrev_b32_e32 v7, 2, v15
	s_delay_alu instid0(VALU_DEP_4) | instskip(SKIP_1) | instid1(VALU_DEP_1)
	v_lshl_or_b32 v18, v18, 9, 0x7c00
	s_wait_alu 0xfffd
	v_cndmask_b32_e32 v3, v17, v18, vcc_lo
	v_and_b32_e32 v17, 7, v15
	v_cndmask_b32_e64 v15, 0, 1, s2
	scratch_load_b32 v18, off, off offset:164 th:TH_LOAD_LU ; 4-byte Folded Reload
	v_and_or_b32 v2, 0x8000, v2, v3
	v_cmp_lt_i32_e32 vcc_lo, 5, v17
	v_cmp_eq_u32_e64 s0, 3, v17
	v_lshl_or_b32 v15, v15, 9, 0x7c00
	scratch_load_b32 v3, off, off offset:152 th:TH_LOAD_LU ; 4-byte Folded Reload
	v_and_b32_e32 v2, 0xffff, v2
	s_or_b32 vcc_lo, s0, vcc_lo
	s_wait_alu 0xfffe
	v_add_co_ci_u32_e32 v7, vcc_lo, 0, v7, vcc_lo
	v_cmp_gt_i32_e32 vcc_lo, 31, v1
	s_wait_alu 0xfffd
	s_delay_alu instid0(VALU_DEP_2) | instskip(SKIP_2) | instid1(VALU_DEP_2)
	v_cndmask_b32_e32 v7, 0x7c00, v7, vcc_lo
	v_cmp_eq_u32_e32 vcc_lo, 0x40f, v1
	s_wait_alu 0xfffd
	v_cndmask_b32_e32 v1, v7, v15, vcc_lo
	scratch_load_b32 v15, off, off offset:156 th:TH_LOAD_LU ; 4-byte Folded Reload
	v_lshrrev_b32_e32 v7, 16, v14
	v_and_or_b32 v1, 0x8000, v5, v1
	v_mul_f16_e32 v5, v22, v8
	s_delay_alu instid0(VALU_DEP_2) | instskip(NEXT) | instid1(VALU_DEP_2)
	v_lshl_or_b32 v1, v1, 16, v2
	v_fmac_f16_e32 v5, v23, v13
	ds_load_2addr_b32 v[22:23], v171 offset0:6 offset1:249
	global_store_b32 v[11:12], v1, off
	v_cvt_f32_f16_e32 v1, v16
	v_add_co_u32 v11, vcc_lo, v11, s14
	s_wait_alu 0xfffd
	v_add_co_ci_u32_e32 v12, vcc_lo, s15, v12, vcc_lo
	s_delay_alu instid0(VALU_DEP_3) | instskip(NEXT) | instid1(VALU_DEP_1)
	v_cvt_f64_f32_e32 v[1:2], v1
	v_mul_f64_e32 v[20:21], s[10:11], v[1:2]
	s_delay_alu instid0(VALU_DEP_1) | instskip(SKIP_2) | instid1(VALU_DEP_3)
	v_and_or_b32 v1, 0x1ff, v21, v20
	v_lshrrev_b32_e32 v2, 8, v21
	v_bfe_u32 v28, v21, 20, 11
	v_cmp_ne_u32_e32 vcc_lo, 0, v1
	s_wait_alu 0xfffd
	v_cndmask_b32_e64 v1, 0, 1, vcc_lo
	s_delay_alu instid0(VALU_DEP_1) | instskip(SKIP_1) | instid1(VALU_DEP_2)
	v_and_or_b32 v27, 0xffe, v2, v1
	v_sub_nc_u32_e32 v1, 0x3f1, v28
	v_or_b32_e32 v2, 0x1000, v27
	s_delay_alu instid0(VALU_DEP_2) | instskip(NEXT) | instid1(VALU_DEP_1)
	v_med3_i32 v1, v1, 0, 13
	v_lshrrev_b32_e32 v29, v1, v2
	s_delay_alu instid0(VALU_DEP_1) | instskip(NEXT) | instid1(VALU_DEP_1)
	v_lshlrev_b32_e32 v1, v1, v29
	v_cmp_ne_u32_e64 s3, v1, v2
	scratch_load_b32 v1, off, off offset:160 th:TH_LOAD_LU ; 4-byte Folded Reload
	s_wait_loadcnt_dscnt 0x200
	v_mul_f16_e32 v2, v3, v22
	s_wait_loadcnt 0x0
	v_mul_f16_e32 v13, v1, v7
	v_mul_f16_e32 v8, v1, v14
	v_lshrrev_b32_e32 v1, 16, v22
	s_delay_alu instid0(VALU_DEP_3) | instskip(NEXT) | instid1(VALU_DEP_2)
	v_fmac_f16_e32 v13, v18, v14
	v_mul_f16_e32 v3, v3, v1
	v_fma_f16 v14, v15, v1, -v2
	s_delay_alu instid0(VALU_DEP_2) | instskip(SKIP_1) | instid1(VALU_DEP_2)
	v_fmac_f16_e32 v3, v15, v22
	v_fma_f16 v22, v18, v7, -v8
	v_cvt_f32_f16_e32 v1, v3
	s_delay_alu instid0(VALU_DEP_1) | instskip(NEXT) | instid1(VALU_DEP_1)
	v_cvt_f64_f32_e32 v[1:2], v1
	v_mul_f64_e32 v[2:3], s[10:11], v[1:2]
	s_delay_alu instid0(VALU_DEP_1) | instskip(SKIP_3) | instid1(VALU_DEP_4)
	v_and_or_b32 v1, 0x1ff, v3, v2
	v_lshrrev_b32_e32 v2, 8, v3
	v_bfe_u32 v17, v3, 20, 11
	v_lshrrev_b32_e32 v3, 16, v3
	v_cmp_ne_u32_e32 vcc_lo, 0, v1
	s_wait_alu 0xfffd
	v_cndmask_b32_e64 v1, 0, 1, vcc_lo
	s_delay_alu instid0(VALU_DEP_1) | instskip(SKIP_1) | instid1(VALU_DEP_2)
	v_and_or_b32 v16, 0xffe, v2, v1
	v_sub_nc_u32_e32 v1, 0x3f1, v17
	v_or_b32_e32 v2, 0x1000, v16
	s_delay_alu instid0(VALU_DEP_2) | instskip(NEXT) | instid1(VALU_DEP_1)
	v_med3_i32 v1, v1, 0, 13
	v_lshrrev_b32_e32 v19, v1, v2
	s_delay_alu instid0(VALU_DEP_1) | instskip(NEXT) | instid1(VALU_DEP_1)
	v_lshlrev_b32_e32 v1, v1, v19
	v_cmp_ne_u32_e64 s0, v1, v2
	v_cvt_f32_f16_e32 v1, v14
	s_delay_alu instid0(VALU_DEP_1) | instskip(NEXT) | instid1(VALU_DEP_1)
	v_cvt_f64_f32_e32 v[1:2], v1
	v_mul_f64_e32 v[7:8], s[10:11], v[1:2]
	s_delay_alu instid0(VALU_DEP_1) | instskip(SKIP_3) | instid1(VALU_DEP_4)
	v_and_or_b32 v1, 0x1ff, v8, v7
	v_lshrrev_b32_e32 v2, 8, v8
	v_bfe_u32 v20, v8, 20, 11
	v_lshrrev_b32_e32 v8, 16, v8
	v_cmp_ne_u32_e32 vcc_lo, 0, v1
	s_wait_alu 0xfffd
	v_cndmask_b32_e64 v1, 0, 1, vcc_lo
	s_delay_alu instid0(VALU_DEP_1) | instskip(SKIP_1) | instid1(VALU_DEP_2)
	v_and_or_b32 v18, 0xffe, v2, v1
	v_sub_nc_u32_e32 v1, 0x3f1, v20
	v_or_b32_e32 v2, 0x1000, v18
	s_delay_alu instid0(VALU_DEP_2) | instskip(NEXT) | instid1(VALU_DEP_1)
	v_med3_i32 v1, v1, 0, 13
	v_lshrrev_b32_e32 v30, v1, v2
	s_delay_alu instid0(VALU_DEP_1) | instskip(NEXT) | instid1(VALU_DEP_1)
	v_lshlrev_b32_e32 v1, v1, v30
	v_cmp_ne_u32_e64 s2, v1, v2
	v_cvt_f32_f16_e32 v1, v13
	s_delay_alu instid0(VALU_DEP_1) | instskip(NEXT) | instid1(VALU_DEP_1)
	v_cvt_f64_f32_e32 v[1:2], v1
	v_mul_f64_e32 v[1:2], s[10:11], v[1:2]
	s_delay_alu instid0(VALU_DEP_1) | instskip(SKIP_3) | instid1(VALU_DEP_4)
	v_and_or_b32 v1, 0x1ff, v2, v1
	v_lshrrev_b32_e32 v7, 8, v2
	v_bfe_u32 v14, v2, 20, 11
	v_lshrrev_b32_e32 v2, 16, v2
	v_cmp_ne_u32_e32 vcc_lo, 0, v1
	s_wait_alu 0xfffd
	v_cndmask_b32_e64 v1, 0, 1, vcc_lo
	s_delay_alu instid0(VALU_DEP_1) | instskip(SKIP_2) | instid1(VALU_DEP_3)
	v_and_or_b32 v13, 0xffe, v7, v1
	v_sub_nc_u32_e32 v1, 0x3f1, v14
	v_add_nc_u32_e32 v14, 0xfffffc10, v14
	v_or_b32_e32 v7, 0x1000, v13
	s_delay_alu instid0(VALU_DEP_3) | instskip(NEXT) | instid1(VALU_DEP_1)
	v_med3_i32 v1, v1, 0, 13
	v_lshrrev_b32_e32 v15, v1, v7
	s_delay_alu instid0(VALU_DEP_1) | instskip(NEXT) | instid1(VALU_DEP_1)
	v_lshlrev_b32_e32 v1, v1, v15
	v_cmp_ne_u32_e32 vcc_lo, v1, v7
	v_cvt_f32_f16_e32 v1, v5
	s_delay_alu instid0(VALU_DEP_1) | instskip(NEXT) | instid1(VALU_DEP_1)
	v_cvt_f64_f32_e32 v[24:25], v1
	v_mul_f64_e32 v[24:25], s[10:11], v[24:25]
	s_delay_alu instid0(VALU_DEP_1) | instskip(SKIP_1) | instid1(VALU_DEP_2)
	v_and_or_b32 v1, 0x1ff, v25, v24
	v_lshrrev_b32_e32 v5, 8, v25
	v_cmp_ne_u32_e64 s4, 0, v1
	s_delay_alu instid0(VALU_DEP_1) | instskip(NEXT) | instid1(VALU_DEP_1)
	v_cndmask_b32_e64 v1, 0, 1, s4
	v_and_or_b32 v1, 0xffe, v5, v1
	v_bfe_u32 v5, v25, 20, 11
	s_delay_alu instid0(VALU_DEP_2) | instskip(NEXT) | instid1(VALU_DEP_2)
	v_or_b32_e32 v24, 0x1000, v1
	v_sub_nc_u32_e32 v7, 0x3f1, v5
	v_add_nc_u32_e32 v5, 0xfffffc10, v5
	s_delay_alu instid0(VALU_DEP_2) | instskip(NEXT) | instid1(VALU_DEP_1)
	v_med3_i32 v7, v7, 0, 13
	v_lshrrev_b32_e32 v31, v7, v24
	s_delay_alu instid0(VALU_DEP_1) | instskip(NEXT) | instid1(VALU_DEP_1)
	v_lshlrev_b32_e32 v7, v7, v31
	v_cmp_ne_u32_e64 s4, v7, v24
	v_lshl_or_b32 v24, v5, 12, v1
	s_wait_alu 0xf1ff
	s_delay_alu instid0(VALU_DEP_2) | instskip(SKIP_1) | instid1(VALU_DEP_2)
	v_cndmask_b32_e64 v7, 0, 1, s4
	v_cmp_gt_i32_e64 s4, 1, v5
	v_or_b32_e32 v7, v31, v7
	scratch_load_b32 v31, off, off offset:108 th:TH_LOAD_LU ; 4-byte Folded Reload
	s_wait_alu 0xf1ff
	v_cndmask_b32_e64 v7, v24, v7, s4
	s_delay_alu instid0(VALU_DEP_1) | instskip(SKIP_1) | instid1(VALU_DEP_2)
	v_and_b32_e32 v24, 7, v7
	v_lshrrev_b32_e32 v7, 2, v7
	v_cmp_lt_i32_e64 s4, 5, v24
	v_cmp_eq_u32_e64 s5, 3, v24
	v_cndmask_b32_e64 v24, 0, 1, s1
	v_cmp_ne_u32_e64 s1, 0, v1
	v_add_nc_u32_e32 v1, 0xfffffc10, v10
	s_delay_alu instid0(VALU_DEP_4) | instskip(NEXT) | instid1(VALU_DEP_3)
	s_or_b32 s4, s5, s4
	v_or_b32_e32 v24, v26, v24
	s_wait_alu 0xfffe
	v_add_co_ci_u32_e64 v7, s4, 0, v7, s4
	v_lshl_or_b32 v10, v1, 12, v9
	v_cmp_gt_i32_e64 s6, 1, v1
	v_cmp_gt_i32_e64 s4, 31, v5
	v_cmp_ne_u32_e64 s5, 0, v9
	scratch_load_b32 v26, off, off offset:140 th:TH_LOAD_LU ; 4-byte Folded Reload
	s_wait_alu 0xf1ff
	v_cndmask_b32_e64 v10, v10, v24, s6
	v_cndmask_b32_e64 v24, 0, 1, s1
	;; [unrolled: 1-line block ×3, first 2 shown]
	v_cmp_eq_u32_e64 s1, 0x40f, v5
	s_delay_alu instid0(VALU_DEP_4) | instskip(NEXT) | instid1(VALU_DEP_4)
	v_lshrrev_b32_e32 v9, 2, v10
	v_lshl_or_b32 v24, v24, 9, 0x7c00
	s_wait_alu 0xf1ff
	s_delay_alu instid0(VALU_DEP_1) | instskip(SKIP_2) | instid1(VALU_DEP_2)
	v_cndmask_b32_e64 v5, v7, v24, s1
	v_and_b32_e32 v7, 7, v10
	v_cndmask_b32_e64 v10, 0, 1, s5
	v_cmp_lt_i32_e64 s1, 5, v7
	v_cmp_eq_u32_e64 s4, 3, v7
	v_lshrrev_b32_e32 v7, 16, v25
	s_delay_alu instid0(VALU_DEP_4) | instskip(NEXT) | instid1(VALU_DEP_3)
	v_lshl_or_b32 v10, v10, 9, 0x7c00
	s_or_b32 s1, s4, s1
	s_delay_alu instid0(VALU_DEP_2) | instskip(SKIP_4) | instid1(VALU_DEP_1)
	v_and_or_b32 v5, 0x8000, v7, v5
	s_wait_alu 0xfffe
	v_add_co_ci_u32_e64 v9, s1, 0, v9, s1
	v_cmp_gt_i32_e64 s1, 31, v1
	s_wait_alu 0xf1ff
	v_cndmask_b32_e64 v9, 0x7c00, v9, s1
	v_cmp_eq_u32_e64 s1, 0x40f, v1
	s_wait_alu 0xf1ff
	s_delay_alu instid0(VALU_DEP_1) | instskip(NEXT) | instid1(VALU_DEP_1)
	v_cndmask_b32_e64 v1, v9, v10, s1
	v_and_or_b32 v1, 0x8000, v4, v1
	v_and_b32_e32 v4, 0xffff, v5
	s_delay_alu instid0(VALU_DEP_1)
	v_lshl_or_b32 v1, v1, 16, v4
	v_add_co_u32 v4, s1, v11, s14
	s_wait_alu 0xf1ff
	v_add_co_ci_u32_e64 v5, s1, s15, v12, s1
	global_store_b32 v[11:12], v1, off
	v_cvt_f32_f16_e32 v1, v22
	s_delay_alu instid0(VALU_DEP_1) | instskip(NEXT) | instid1(VALU_DEP_1)
	v_cvt_f64_f32_e32 v[9:10], v1
	v_mul_f64_e32 v[9:10], s[10:11], v[9:10]
	s_delay_alu instid0(VALU_DEP_1) | instskip(SKIP_3) | instid1(VALU_DEP_4)
	v_and_or_b32 v1, 0x1ff, v10, v9
	v_lshrrev_b32_e32 v7, 8, v10
	v_bfe_u32 v22, v10, 20, 11
	v_lshrrev_b32_e32 v10, 16, v10
	v_cmp_ne_u32_e64 s1, 0, v1
	s_wait_alu 0xf1ff
	s_delay_alu instid0(VALU_DEP_1) | instskip(NEXT) | instid1(VALU_DEP_1)
	v_cndmask_b32_e64 v1, 0, 1, s1
	v_and_or_b32 v9, 0xffe, v7, v1
	v_sub_nc_u32_e32 v1, 0x3f1, v22
	s_delay_alu instid0(VALU_DEP_2) | instskip(NEXT) | instid1(VALU_DEP_2)
	v_or_b32_e32 v7, 0x1000, v9
	v_med3_i32 v1, v1, 0, 13
	s_delay_alu instid0(VALU_DEP_1) | instskip(NEXT) | instid1(VALU_DEP_1)
	v_lshrrev_b32_e32 v24, v1, v7
	v_lshlrev_b32_e32 v1, v1, v24
	s_delay_alu instid0(VALU_DEP_1) | instskip(SKIP_1) | instid1(VALU_DEP_1)
	v_cmp_ne_u32_e64 s1, v1, v7
	v_cvt_f32_f16_e32 v1, v6
	v_cvt_f64_f32_e32 v[6:7], v1
	s_delay_alu instid0(VALU_DEP_1) | instskip(NEXT) | instid1(VALU_DEP_1)
	v_mul_f64_e32 v[6:7], s[10:11], v[6:7]
	v_and_or_b32 v1, 0x1ff, v7, v6
	v_lshrrev_b32_e32 v6, 8, v7
	s_delay_alu instid0(VALU_DEP_2) | instskip(SKIP_1) | instid1(VALU_DEP_1)
	v_cmp_ne_u32_e64 s4, 0, v1
	s_wait_alu 0xf1ff
	v_cndmask_b32_e64 v1, 0, 1, s4
	s_delay_alu instid0(VALU_DEP_1) | instskip(SKIP_2) | instid1(VALU_DEP_3)
	v_and_or_b32 v1, 0xffe, v6, v1
	v_bfe_u32 v6, v7, 20, 11
	v_lshrrev_b32_e32 v7, 16, v7
	v_or_b32_e32 v12, 0x1000, v1
	s_delay_alu instid0(VALU_DEP_3) | instskip(SKIP_1) | instid1(VALU_DEP_2)
	v_sub_nc_u32_e32 v11, 0x3f1, v6
	v_add_nc_u32_e32 v6, 0xfffffc10, v6
	v_med3_i32 v11, v11, 0, 13
	s_delay_alu instid0(VALU_DEP_1) | instskip(NEXT) | instid1(VALU_DEP_1)
	v_lshrrev_b32_e32 v25, v11, v12
	v_lshlrev_b32_e32 v11, v11, v25
	s_delay_alu instid0(VALU_DEP_1) | instskip(SKIP_2) | instid1(VALU_DEP_2)
	v_cmp_ne_u32_e64 s4, v11, v12
	v_lshl_or_b32 v12, v6, 12, v1
	s_wait_alu 0xf1ff
	v_cndmask_b32_e64 v11, 0, 1, s4
	v_cmp_gt_i32_e64 s4, 1, v6
	s_delay_alu instid0(VALU_DEP_2) | instskip(SKIP_1) | instid1(VALU_DEP_1)
	v_or_b32_e32 v11, v25, v11
	s_wait_alu 0xf1ff
	v_cndmask_b32_e64 v11, v12, v11, s4
	s_delay_alu instid0(VALU_DEP_1) | instskip(SKIP_1) | instid1(VALU_DEP_2)
	v_and_b32_e32 v12, 7, v11
	v_lshrrev_b32_e32 v11, 2, v11
	v_cmp_lt_i32_e64 s4, 5, v12
	v_cmp_eq_u32_e64 s5, 3, v12
	v_cndmask_b32_e64 v12, 0, 1, s3
	v_cmp_ne_u32_e64 s3, 0, v1
	v_add_nc_u32_e32 v1, 0xfffffc10, v28
	s_delay_alu instid0(VALU_DEP_4) | instskip(NEXT) | instid1(VALU_DEP_3)
	s_or_b32 s4, s5, s4
	v_or_b32_e32 v12, v29, v12
	s_wait_alu 0xfffe
	v_add_co_ci_u32_e64 v11, s4, 0, v11, s4
	v_lshl_or_b32 v25, v1, 12, v27
	v_cmp_gt_i32_e64 s6, 1, v1
	v_cmp_gt_i32_e64 s4, 31, v6
	v_cmp_ne_u32_e64 s5, 0, v27
	s_clause 0x1
	scratch_load_b32 v27, off, off offset:120 th:TH_LOAD_LU
	scratch_load_b32 v29, off, off offset:124 th:TH_LOAD_LU
	s_wait_alu 0xf1ff
	v_cndmask_b32_e64 v12, v25, v12, s6
	v_cndmask_b32_e64 v25, 0, 1, s3
	;; [unrolled: 1-line block ×3, first 2 shown]
	v_cmp_eq_u32_e64 s3, 0x40f, v6
	s_delay_alu instid0(VALU_DEP_3) | instskip(SKIP_1) | instid1(VALU_DEP_1)
	v_lshl_or_b32 v25, v25, 9, 0x7c00
	s_wait_alu 0xf1ff
	v_cndmask_b32_e64 v6, v11, v25, s3
	v_and_b32_e32 v11, 7, v12
	s_delay_alu instid0(VALU_DEP_2) | instskip(NEXT) | instid1(VALU_DEP_2)
	v_and_or_b32 v6, 0x8000, v7, v6
	v_cmp_lt_i32_e64 s3, 5, v11
	v_cmp_eq_u32_e64 s4, 3, v11
	v_lshrrev_b32_e32 v11, 2, v12
	v_cndmask_b32_e64 v12, 0, 1, s5
	v_and_b32_e32 v6, 0xffff, v6
	scratch_load_b32 v7, off, off offset:136 th:TH_LOAD_LU ; 4-byte Folded Reload
	s_or_b32 s3, s4, s3
	s_wait_alu 0xfffe
	v_add_co_ci_u32_e64 v11, s3, 0, v11, s3
	v_cmp_gt_i32_e64 s3, 31, v1
	v_lshl_or_b32 v12, v12, 9, 0x7c00
	s_wait_alu 0xf1ff
	s_delay_alu instid0(VALU_DEP_2) | instskip(SKIP_2) | instid1(VALU_DEP_1)
	v_cndmask_b32_e64 v11, 0x7c00, v11, s3
	v_cmp_eq_u32_e64 s3, 0x40f, v1
	s_wait_alu 0xf1ff
	v_cndmask_b32_e64 v1, v11, v12, s3
	v_lshrrev_b32_e32 v11, 16, v21
	s_delay_alu instid0(VALU_DEP_1) | instskip(SKIP_3) | instid1(VALU_DEP_3)
	v_and_or_b32 v1, 0x8000, v11, v1
	v_add_co_u32 v11, s3, v4, s8
	s_wait_alu 0xf1ff
	v_add_co_ci_u32_e64 v12, s3, s9, v5, s3
	v_lshl_or_b32 v1, v1, 16, v6
	global_store_b32 v[4:5], v1, off
	s_clause 0x1
	scratch_load_b32 v4, off, off offset:148 th:TH_LOAD_LU
	scratch_load_b32 v5, off, off offset:144 th:TH_LOAD_LU
	v_lshrrev_b32_e32 v1, 16, v23
	s_wait_loadcnt 0x1
	s_delay_alu instid0(VALU_DEP_1) | instskip(SKIP_2) | instid1(VALU_DEP_2)
	v_mul_f16_e32 v21, v4, v1
	v_mul_f16_e32 v4, v4, v23
	s_wait_loadcnt 0x0
	v_fmac_f16_e32 v21, v5, v23
	s_delay_alu instid0(VALU_DEP_2) | instskip(SKIP_4) | instid1(VALU_DEP_2)
	v_fma_f16 v23, v5, v1, -v4
	ds_load_2addr_b32 v[4:5], v179 offset0:12 offset1:255
	s_wait_dscnt 0x0
	v_lshrrev_b32_e32 v1, 16, v4
	v_mul_f16_e32 v6, v7, v4
	v_mul_f16_e32 v7, v7, v1
	s_delay_alu instid0(VALU_DEP_2) | instskip(NEXT) | instid1(VALU_DEP_2)
	v_fma_f16 v25, v26, v1, -v6
	v_fmac_f16_e32 v7, v26, v4
	s_delay_alu instid0(VALU_DEP_1) | instskip(NEXT) | instid1(VALU_DEP_1)
	v_cvt_f32_f16_e32 v1, v7
	v_cvt_f64_f32_e32 v[6:7], v1
	s_delay_alu instid0(VALU_DEP_1) | instskip(NEXT) | instid1(VALU_DEP_1)
	v_mul_f64_e32 v[6:7], s[10:11], v[6:7]
	v_and_or_b32 v1, 0x1ff, v7, v6
	v_lshrrev_b32_e32 v4, 8, v7
	v_add_nc_u32_e32 v6, 0xfffffc10, v17
	s_delay_alu instid0(VALU_DEP_3) | instskip(NEXT) | instid1(VALU_DEP_2)
	v_cmp_ne_u32_e64 s3, 0, v1
	v_lshl_or_b32 v17, v6, 12, v16
	s_wait_alu 0xf1ff
	s_delay_alu instid0(VALU_DEP_2) | instskip(SKIP_1) | instid1(VALU_DEP_2)
	v_cndmask_b32_e64 v1, 0, 1, s3
	v_cmp_ne_u32_e64 s3, 0, v16
	v_and_or_b32 v1, 0xffe, v4, v1
	v_cndmask_b32_e64 v4, 0, 1, s0
	v_cmp_gt_i32_e64 s0, 1, v6
	s_delay_alu instid0(VALU_DEP_2) | instskip(SKIP_2) | instid1(VALU_DEP_2)
	v_or_b32_e32 v4, v19, v4
	v_add_nc_u32_e32 v19, 0xfffffc10, v20
	s_wait_alu 0xf1ff
	v_cndmask_b32_e64 v4, v17, v4, s0
	v_cndmask_b32_e64 v17, 0, 1, s2
	s_delay_alu instid0(VALU_DEP_3) | instskip(SKIP_1) | instid1(VALU_DEP_3)
	v_lshl_or_b32 v20, v19, 12, v18
	v_cmp_gt_i32_e64 s0, 1, v19
	v_or_b32_e32 v17, v30, v17
	s_wait_alu 0xf1ff
	s_delay_alu instid0(VALU_DEP_1) | instskip(SKIP_2) | instid1(VALU_DEP_3)
	v_cndmask_b32_e64 v17, v20, v17, s0
	v_and_b32_e32 v20, 7, v4
	v_lshrrev_b32_e32 v4, 2, v4
	v_and_b32_e32 v16, 7, v17
	s_delay_alu instid0(VALU_DEP_3) | instskip(SKIP_1) | instid1(VALU_DEP_3)
	v_cmp_lt_i32_e64 s0, 5, v20
	v_cmp_eq_u32_e64 s2, 3, v20
	v_cmp_lt_i32_e64 s4, 5, v16
	v_cmp_eq_u32_e64 s5, 3, v16
	s_delay_alu instid0(VALU_DEP_3)
	s_or_b32 s0, s2, s0
	v_cndmask_b32_e64 v16, 0, 1, s3
	s_wait_alu 0xfffe
	v_add_co_ci_u32_e64 v4, s0, 0, v4, s0
	v_cmp_gt_i32_e64 s0, 31, v6
	s_or_b32 s2, s5, s4
	v_lshl_or_b32 v16, v16, 9, 0x7c00
	s_delay_alu instid0(VALU_DEP_2) | instskip(SKIP_3) | instid1(VALU_DEP_2)
	v_cndmask_b32_e64 v4, 0x7c00, v4, s0
	v_cmp_eq_u32_e64 s0, 0x40f, v6
	v_lshrrev_b32_e32 v6, 2, v17
	s_wait_alu 0xf1ff
	v_cndmask_b32_e64 v4, v4, v16, s0
	v_cmp_ne_u32_e64 s0, 0, v18
	v_add_nc_u32_e32 v18, 0xfffffc10, v22
	s_wait_alu 0xfffe
	v_add_co_ci_u32_e64 v6, s2, 0, v6, s2
	v_and_or_b32 v17, 0x8000, v3, v4
	s_wait_alu 0xfffd
	v_cndmask_b32_e64 v3, 0, 1, vcc_lo
	v_lshl_or_b32 v4, v14, 12, v13
	v_cmp_gt_i32_e32 vcc_lo, 1, v14
	v_cmp_gt_i32_e64 s2, 31, v19
	s_wait_alu 0xf1ff
	v_cndmask_b32_e64 v16, 0, 1, s0
	v_or_b32_e32 v3, v15, v3
	v_cmp_eq_u32_e64 s0, 0x40f, v19
	v_and_b32_e32 v17, 0xffff, v17
	v_cndmask_b32_e64 v6, 0x7c00, v6, s2
	v_lshl_or_b32 v16, v16, 9, 0x7c00
	s_wait_alu 0xfffd
	v_cndmask_b32_e32 v15, v4, v3, vcc_lo
	v_cndmask_b32_e64 v3, 0, 1, s1
	v_lshl_or_b32 v4, v18, 12, v9
	v_cmp_gt_i32_e32 vcc_lo, 1, v18
	s_wait_alu 0xf1ff
	v_cndmask_b32_e64 v6, v6, v16, s0
	v_cvt_f32_f16_e32 v16, v21
	v_or_b32_e32 v3, v24, v3
	s_delay_alu instid0(VALU_DEP_3) | instskip(SKIP_1) | instid1(VALU_DEP_2)
	v_and_or_b32 v6, 0x8000, v8, v6
	s_wait_alu 0xfffd
	v_cndmask_b32_e32 v19, v4, v3, vcc_lo
	v_and_b32_e32 v3, 7, v15
	v_cvt_f32_f16_e32 v4, v25
	v_lshrrev_b32_e32 v15, 2, v15
	v_lshl_or_b32 v6, v6, 16, v17
	scratch_load_b32 v25, off, off offset:132 th:TH_LOAD_LU ; 4-byte Folded Reload
	v_cmp_lt_i32_e32 vcc_lo, 5, v3
	v_cmp_eq_u32_e64 s0, 3, v3
	v_and_b32_e32 v3, 7, v19
	v_lshrrev_b32_e32 v19, 2, v19
	global_store_b32 v[11:12], v6, off
	v_cvt_f32_f16_e32 v17, v23
	s_or_b32 vcc_lo, s0, vcc_lo
	v_cmp_lt_i32_e64 s1, 5, v3
	v_cmp_eq_u32_e64 s2, 3, v3
	v_cvt_f64_f32_e32 v[3:4], v4
	s_wait_alu 0xfffe
	v_add_co_ci_u32_e32 v15, vcc_lo, 0, v15, vcc_lo
	v_cmp_ne_u32_e32 vcc_lo, 0, v13
	s_wait_alu 0xfffd
	v_cndmask_b32_e64 v13, 0, 1, vcc_lo
	v_cmp_gt_i32_e32 vcc_lo, 31, v14
	s_delay_alu instid0(VALU_DEP_2)
	v_lshl_or_b32 v21, v13, 9, 0x7c00
	s_wait_alu 0xfffd
	v_cndmask_b32_e32 v20, 0x7c00, v15, vcc_lo
	v_cmp_eq_u32_e32 vcc_lo, 0x40f, v14
	v_cvt_f64_f32_e32 v[13:14], v16
	s_wait_alu 0xfffd
	s_delay_alu instid0(VALU_DEP_3) | instskip(SKIP_3) | instid1(VALU_DEP_3)
	v_cndmask_b32_e32 v20, v20, v21, vcc_lo
	s_or_b32 vcc_lo, s2, s1
	v_bfe_u32 v21, v7, 20, 11
	v_lshrrev_b32_e32 v7, 16, v7
	v_and_or_b32 v2, 0x8000, v2, v20
	s_delay_alu instid0(VALU_DEP_1)
	v_and_b32_e32 v2, 0xffff, v2
	v_mul_f64_e32 v[15:16], s[10:11], v[3:4]
	v_mul_f64_e32 v[3:4], s[10:11], v[13:14]
	s_wait_alu 0xfffe
	v_add_co_ci_u32_e32 v13, vcc_lo, 0, v19, vcc_lo
	v_cmp_ne_u32_e32 vcc_lo, 0, v9
	v_sub_nc_u32_e32 v14, 0x3f1, v21
	v_add_nc_u32_e32 v21, 0xfffffc10, v21
	s_wait_alu 0xfffd
	v_cndmask_b32_e64 v9, 0, 1, vcc_lo
	v_cmp_gt_i32_e32 vcc_lo, 31, v18
	v_med3_i32 v14, v14, 0, 13
	s_delay_alu instid0(VALU_DEP_3)
	v_lshl_or_b32 v9, v9, 9, 0x7c00
	s_wait_alu 0xfffd
	v_cndmask_b32_e32 v13, 0x7c00, v13, vcc_lo
	v_cmp_eq_u32_e32 vcc_lo, 0x40f, v18
	v_or_b32_e32 v18, 0x1000, v1
	s_wait_alu 0xfffd
	s_delay_alu instid0(VALU_DEP_3) | instskip(SKIP_3) | instid1(VALU_DEP_4)
	v_cndmask_b32_e32 v9, v13, v9, vcc_lo
	v_and_or_b32 v13, 0x1ff, v16, v15
	v_lshrrev_b32_e32 v19, 8, v16
	v_lshrrev_b32_e32 v15, v14, v18
	v_and_or_b32 v9, 0x8000, v10, v9
	v_bfe_u32 v8, v16, 20, 11
	v_cmp_ne_u32_e32 vcc_lo, 0, v13
	s_delay_alu instid0(VALU_DEP_4) | instskip(NEXT) | instid1(VALU_DEP_4)
	v_lshlrev_b32_e32 v20, v14, v15
	v_lshl_or_b32 v2, v9, 16, v2
	ds_load_2addr_b32 v[9:10], v160 offset0:4 offset1:247
	s_wait_alu 0xfffd
	v_cndmask_b32_e64 v13, 0, 1, vcc_lo
	v_sub_nc_u32_e32 v22, 0x3f1, v8
	v_add_nc_u32_e32 v24, 0xfffffc10, v8
	s_delay_alu instid0(VALU_DEP_3)
	v_and_or_b32 v19, 0xffe, v19, v13
	v_add_co_u32 v13, vcc_lo, v11, s14
	s_wait_alu 0xfffd
	v_add_co_ci_u32_e32 v14, vcc_lo, s15, v12, vcc_lo
	v_and_or_b32 v6, 0x1ff, v4, v3
	v_med3_i32 v22, v22, 0, 13
	v_or_b32_e32 v11, 0x1000, v19
	global_store_b32 v[13:14], v2, off
	v_add_co_u32 v13, vcc_lo, v13, s14
	s_wait_alu 0xfffd
	v_add_co_ci_u32_e32 v14, vcc_lo, s15, v14, vcc_lo
	v_cmp_ne_u32_e32 vcc_lo, 0, v6
	v_cvt_f64_f32_e32 v[2:3], v17
	v_lshrrev_b32_e32 v12, 8, v4
	s_wait_dscnt 0x0
	v_lshrrev_b32_e32 v17, 16, v9
	s_wait_alu 0xfffd
	v_cndmask_b32_e64 v6, 0, 1, vcc_lo
	v_cmp_ne_u32_e32 vcc_lo, v20, v18
	scratch_load_b32 v20, off, off offset:128 th:TH_LOAD_LU ; 4-byte Folded Reload
	v_and_or_b32 v6, 0xffe, v12, v6
	v_lshrrev_b32_e32 v12, v22, v11
	s_wait_loadcnt 0x0
	v_mul_f16_e32 v18, v20, v9
	v_mul_f16_e32 v20, v20, v17
	s_delay_alu instid0(VALU_DEP_2)
	v_fma_f16 v23, v25, v17, -v18
	v_lshlrev_b32_e32 v18, v22, v12
	s_wait_alu 0xfffd
	v_cndmask_b32_e64 v17, 0, 1, vcc_lo
	v_lshrrev_b32_e32 v22, 16, v5
	v_fmac_f16_e32 v20, v25, v9
	v_lshl_or_b32 v9, v24, 12, v19
	v_cmp_ne_u32_e32 vcc_lo, v18, v11
	v_or_b32_e32 v15, v15, v17
	v_lshl_or_b32 v11, v21, 12, v1
	s_wait_alu 0xfffd
	v_cndmask_b32_e64 v17, 0, 1, vcc_lo
	v_cmp_gt_i32_e32 vcc_lo, 1, v21
	s_delay_alu instid0(VALU_DEP_2)
	v_or_b32_e32 v8, v12, v17
	s_wait_alu 0xfffd
	v_cndmask_b32_e32 v11, v11, v15, vcc_lo
	v_mul_f16_e32 v15, v27, v22
	v_cmp_gt_i32_e32 vcc_lo, 1, v24
	v_cvt_f32_f16_e32 v12, v20
	v_mul_f64_e32 v[17:18], s[10:11], v[2:3]
	v_and_b32_e32 v20, 7, v11
	v_fmac_f16_e32 v15, v29, v5
	s_wait_alu 0xfffd
	v_cndmask_b32_e32 v25, v9, v8, vcc_lo
	v_cvt_f64_f32_e32 v[8:9], v12
	v_lshrrev_b32_e32 v11, 2, v11
	v_cmp_lt_i32_e32 vcc_lo, 5, v20
	v_cvt_f32_f16_e32 v3, v15
	v_and_b32_e32 v2, 7, v25
	v_cmp_eq_u32_e64 s0, 3, v20
	v_mul_f16_e32 v5, v27, v5
	s_delay_alu instid0(VALU_DEP_3)
	v_cmp_lt_i32_e64 s1, 5, v2
	v_cmp_eq_u32_e64 s2, 3, v2
	v_cvt_f64_f32_e32 v[2:3], v3
	s_or_b32 vcc_lo, s0, vcc_lo
	v_fma_f16 v5, v29, v22, -v5
	s_wait_alu 0xfffe
	v_add_co_ci_u32_e32 v11, vcc_lo, 0, v11, vcc_lo
	v_cmp_ne_u32_e32 vcc_lo, 0, v1
	s_wait_alu 0xfffd
	v_cndmask_b32_e64 v1, 0, 1, vcc_lo
	v_cmp_gt_i32_e32 vcc_lo, 31, v21
	s_delay_alu instid0(VALU_DEP_2)
	v_lshl_or_b32 v1, v1, 9, 0x7c00
	s_wait_alu 0xfffd
	v_cndmask_b32_e32 v15, 0x7c00, v11, vcc_lo
	v_cmp_eq_u32_e32 vcc_lo, 0x40f, v21
	v_bfe_u32 v21, v4, 20, 11
	v_lshrrev_b32_e32 v4, 16, v4
	s_wait_alu 0xfffd
	v_cndmask_b32_e32 v1, v15, v1, vcc_lo
	s_or_b32 vcc_lo, s2, s1
	v_mul_f64_e32 v[11:12], s[10:11], v[8:9]
	v_lshrrev_b32_e32 v8, 2, v25
	v_and_or_b32 v9, 0x1ff, v18, v17
	v_cvt_f32_f16_e32 v17, v23
	v_bfe_u32 v23, v18, 20, 11
	v_and_or_b32 v1, 0x8000, v7, v1
	s_wait_alu 0xfffe
	v_add_co_ci_u32_e32 v8, vcc_lo, 0, v8, vcc_lo
	v_cmp_ne_u32_e32 vcc_lo, 0, v19
	v_cvt_f64_f32_e32 v[19:20], v17
	v_sub_nc_u32_e32 v17, 0x3f1, v21
	v_mul_f64_e32 v[2:3], s[10:11], v[2:3]
	v_sub_nc_u32_e32 v7, 0x3f1, v23
	s_wait_alu 0xfffd
	v_cndmask_b32_e64 v15, 0, 1, vcc_lo
	v_cmp_gt_i32_e32 vcc_lo, 31, v24
	v_med3_i32 v17, v17, 0, 13
	v_or_b32_e32 v25, 0x1000, v6
	v_and_b32_e32 v1, 0xffff, v1
	v_lshl_or_b32 v15, v15, 9, 0x7c00
	s_wait_alu 0xfffd
	v_cndmask_b32_e32 v8, 0x7c00, v8, vcc_lo
	v_cmp_eq_u32_e32 vcc_lo, 0x40f, v24
	v_med3_i32 v7, v7, 0, 13
	v_lshrrev_b32_e32 v27, v17, v25
	s_wait_alu 0xfffd
	v_cndmask_b32_e32 v8, v8, v15, vcc_lo
	v_cmp_ne_u32_e32 vcc_lo, 0, v9
	v_lshrrev_b32_e32 v15, 16, v16
	v_lshrrev_b32_e32 v16, 8, v18
	v_lshlrev_b32_e32 v17, v17, v27
	v_lshrrev_b32_e32 v18, 16, v18
	s_wait_alu 0xfffd
	v_cndmask_b32_e64 v9, 0, 1, vcc_lo
	v_and_or_b32 v8, 0x8000, v15, v8
	s_delay_alu instid0(VALU_DEP_2) | instskip(NEXT) | instid1(VALU_DEP_2)
	v_and_or_b32 v24, 0xffe, v16, v9
	v_lshl_or_b32 v1, v8, 16, v1
	v_and_or_b32 v11, 0x1ff, v12, v11
	ds_load_2addr_b32 v[8:9], v157 offset0:12 offset1:255
	v_or_b32_e32 v26, 0x1000, v24
	global_store_b32 v[13:14], v1, off
	v_cmp_ne_u32_e32 vcc_lo, 0, v11
	v_lshrrev_b32_e32 v1, 8, v12
	v_lshrrev_b32_e32 v28, v7, v26
	s_wait_alu 0xfffd
	v_cndmask_b32_e64 v11, 0, 1, vcc_lo
	v_and_or_b32 v2, 0x1ff, v3, v2
	v_add_co_u32 v15, vcc_lo, v13, s8
	s_wait_alu 0xfffd
	v_add_co_ci_u32_e32 v16, vcc_lo, s9, v14, vcc_lo
	s_delay_alu instid0(VALU_DEP_3)
	v_cmp_ne_u32_e32 vcc_lo, 0, v2
	v_lshlrev_b32_e32 v7, v7, v28
	v_and_or_b32 v29, 0xffe, v1, v11
	v_mul_f64_e32 v[13:14], s[10:11], v[19:20]
	v_lshrrev_b32_e32 v19, 8, v3
	s_wait_alu 0xfffd
	v_cndmask_b32_e64 v11, 0, 1, vcc_lo
	v_cmp_ne_u32_e32 vcc_lo, v17, v25
	v_add_nc_u32_e32 v17, 0xfffffc10, v21
	s_wait_dscnt 0x0
	v_lshrrev_b32_e32 v20, 16, v8
	v_add_nc_u32_e32 v25, 0xfffffc10, v23
	v_and_or_b32 v11, 0xffe, v19, v11
	s_wait_alu 0xfffd
	v_cndmask_b32_e64 v1, 0, 1, vcc_lo
	v_cmp_ne_u32_e32 vcc_lo, v7, v26
	scratch_load_b32 v26, off, off offset:112 th:TH_LOAD_LU ; 4-byte Folded Reload
	v_lshl_or_b32 v7, v17, 12, v6
	v_lshl_or_b32 v22, v25, 12, v24
	v_or_b32_e32 v1, v27, v1
	scratch_load_b32 v27, off, off offset:116 th:TH_LOAD_LU ; 4-byte Folded Reload
	s_wait_alu 0xfffd
	v_cndmask_b32_e64 v2, 0, 1, vcc_lo
	v_cmp_gt_i32_e32 vcc_lo, 1, v17
	v_or_b32_e32 v30, 0x1000, v29
	s_delay_alu instid0(VALU_DEP_3)
	v_or_b32_e32 v2, v28, v2
	s_wait_alu 0xfffd
	v_cndmask_b32_e32 v23, v7, v1, vcc_lo
	v_cvt_f32_f16_e32 v1, v5
	v_cmp_gt_i32_e32 vcc_lo, 1, v25
	v_bfe_u32 v28, v3, 20, 11
	s_wait_alu 0xfffd
	v_cndmask_b32_e32 v5, v22, v2, vcc_lo
	v_cvt_f64_f32_e32 v[1:2], v1
	v_and_or_b32 v13, 0x1ff, v14, v13
	s_wait_loadcnt 0x1
	v_mul_f16_e32 v21, v26, v20
	v_mul_f16_e32 v7, v26, v8
	v_lshrrev_b32_e32 v26, 16, v10
	s_wait_loadcnt 0x0
	s_delay_alu instid0(VALU_DEP_3) | instskip(NEXT) | instid1(VALU_DEP_3)
	v_fmac_f16_e32 v21, v27, v8
	v_fma_f16 v19, v27, v20, -v7
	v_and_b32_e32 v20, 7, v5
	v_mul_f16_e32 v22, v31, v26
	v_lshrrev_b32_e32 v5, 2, v5
	v_cvt_f32_f16_e32 v8, v21
	v_and_b32_e32 v21, 7, v23
	v_cvt_f32_f16_e32 v19, v19
	v_cmp_lt_i32_e64 s1, 5, v20
	v_cmp_eq_u32_e64 s2, 3, v20
	v_cvt_f64_f32_e32 v[7:8], v8
	v_cmp_lt_i32_e32 vcc_lo, 5, v21
	v_cmp_eq_u32_e64 s0, 3, v21
	v_lshrrev_b32_e32 v21, 2, v23
	v_cvt_f64_f32_e32 v[19:20], v19
	v_fmac_f16_e32 v22, v32, v10
	v_mul_f16_e32 v10, v31, v10
	s_or_b32 vcc_lo, s0, vcc_lo
	v_cmp_ne_u32_e64 s0, 0, v13
	s_wait_alu 0xfffe
	v_add_co_ci_u32_e32 v21, vcc_lo, 0, v21, vcc_lo
	v_cmp_ne_u32_e32 vcc_lo, 0, v6
	v_cvt_f32_f16_e32 v22, v22
	s_wait_alu 0xf1ff
	v_cndmask_b32_e64 v13, 0, 1, s0
	s_wait_alu 0xfffd
	v_cndmask_b32_e64 v6, 0, 1, vcc_lo
	v_cmp_gt_i32_e32 vcc_lo, 31, v17
	s_delay_alu instid0(VALU_DEP_2) | instskip(SKIP_4) | instid1(VALU_DEP_2)
	v_lshl_or_b32 v6, v6, 9, 0x7c00
	s_wait_alu 0xfffd
	v_cndmask_b32_e32 v21, 0x7c00, v21, vcc_lo
	v_cmp_eq_u32_e32 vcc_lo, 0x40f, v17
	s_wait_alu 0xfffd
	v_cndmask_b32_e32 v17, v21, v6, vcc_lo
	v_cvt_f64_f32_e32 v[21:22], v22
	s_or_b32 vcc_lo, s2, s1
	s_wait_alu 0xfffe
	v_add_co_ci_u32_e32 v5, vcc_lo, 0, v5, vcc_lo
	v_cmp_ne_u32_e32 vcc_lo, 0, v24
	v_mul_f64_e32 v[23:24], s[10:11], v[1:2]
	v_and_or_b32 v4, 0x8000, v4, v17
	v_bfe_u32 v17, v12, 20, 11
	v_lshrrev_b32_e32 v12, 16, v12
	s_wait_alu 0xfffd
	v_cndmask_b32_e64 v27, 0, 1, vcc_lo
	v_cmp_gt_i32_e32 vcc_lo, 31, v25
	v_and_b32_e32 v4, 0xffff, v4
	s_delay_alu instid0(VALU_DEP_3)
	v_lshl_or_b32 v2, v27, 9, 0x7c00
	s_wait_alu 0xfffd
	v_cndmask_b32_e32 v1, 0x7c00, v5, vcc_lo
	v_mul_f64_e32 v[5:6], s[10:11], v[7:8]
	v_sub_nc_u32_e32 v7, 0x3f1, v28
	v_cmp_eq_u32_e32 vcc_lo, 0x40f, v25
	v_or_b32_e32 v27, 0x1000, v11
	s_delay_alu instid0(VALU_DEP_3)
	v_med3_i32 v25, v7, 0, 13
	v_mul_f64_e32 v[7:8], s[10:11], v[19:20]
	s_wait_alu 0xfffd
	v_cndmask_b32_e32 v1, v1, v2, vcc_lo
	v_lshrrev_b32_e32 v2, 8, v14
	v_add_co_u32 v20, s0, v15, s14
	v_lshrrev_b32_e32 v19, v25, v27
	s_delay_alu instid0(VALU_DEP_4) | instskip(NEXT) | instid1(VALU_DEP_4)
	v_and_or_b32 v1, 0x8000, v18, v1
	v_and_or_b32 v13, 0xffe, v2, v13
	v_sub_nc_u32_e32 v2, 0x3f1, v17
	v_add_nc_u32_e32 v17, 0xfffffc10, v17
	v_lshlrev_b32_e32 v18, v25, v19
	v_lshl_or_b32 v4, v1, 16, v4
	s_delay_alu instid0(VALU_DEP_4)
	v_med3_i32 v25, v2, 0, 13
	v_mul_f64_e32 v[1:2], s[10:11], v[21:22]
	s_wait_alu 0xf1ff
	v_add_co_ci_u32_e64 v21, s0, s15, v16, s0
	global_store_b32 v[15:16], v4, off
	v_lshrrev_b32_e32 v15, v25, v30
	v_fma_f16 v22, v32, v26, -v10
	v_and_or_b32 v4, 0x1ff, v24, v23
	v_lshrrev_b32_e32 v10, 8, v24
	v_cmp_ne_u32_e32 vcc_lo, v18, v27
	v_lshlrev_b32_e32 v25, v25, v15
	v_bfe_u32 v18, v14, 20, 11
	v_cmp_ne_u32_e64 s0, 0, v4
	v_cvt_f32_f16_e32 v22, v22
	v_add_nc_u32_e32 v27, 0xfffffc10, v28
	v_lshrrev_b32_e32 v14, 16, v14
	v_sub_nc_u32_e32 v16, 0x3f1, v18
	s_wait_alu 0xf1ff
	v_cndmask_b32_e64 v4, 0, 1, s0
	v_and_or_b32 v5, 0x1ff, v6, v5
	v_lshrrev_b32_e32 v23, 8, v6
	v_add_nc_u32_e32 v18, 0xfffffc10, v18
	v_med3_i32 v16, v16, 0, 13
	v_and_or_b32 v26, 0xffe, v10, v4
	v_cmp_ne_u32_e64 s0, 0, v5
	v_bfe_u32 v28, v6, 20, 11
	v_and_or_b32 v4, 0x1ff, v8, v7
	v_lshrrev_b32_e32 v7, 8, v8
	v_lshrrev_b32_e32 v6, 16, v6
	s_wait_alu 0xf1ff
	v_cndmask_b32_e64 v5, 0, 1, s0
	v_cmp_ne_u32_e64 s0, v25, v30
	v_or_b32_e32 v25, 0x1000, v26
	s_delay_alu instid0(VALU_DEP_3) | instskip(SKIP_1) | instid1(VALU_DEP_3)
	v_and_or_b32 v10, 0xffe, v23, v5
	s_wait_alu 0xf1ff
	v_cndmask_b32_e64 v5, 0, 1, s0
	v_cmp_ne_u32_e64 s0, 0, v4
	v_or_b32_e32 v23, 0x1000, v13
	v_or_b32_e32 v32, 0x1000, v10
	s_delay_alu instid0(VALU_DEP_4)
	v_or_b32_e32 v5, v15, v5
	s_wait_alu 0xf1ff
	v_cndmask_b32_e64 v4, 0, 1, s0
	v_lshl_or_b32 v15, v17, 12, v29
	v_cmp_gt_i32_e64 s0, 1, v17
	v_and_or_b32 v1, 0x1ff, v2, v1
	s_delay_alu instid0(VALU_DEP_4) | instskip(SKIP_4) | instid1(VALU_DEP_3)
	v_and_or_b32 v7, 0xffe, v7, v4
	v_lshrrev_b32_e32 v4, v16, v23
	s_wait_alu 0xf1ff
	v_cndmask_b32_e64 v5, v15, v5, s0
	v_cmp_ne_u32_e64 s0, 0, v1
	v_lshlrev_b32_e32 v15, v16, v4
	s_delay_alu instid0(VALU_DEP_3) | instskip(SKIP_1) | instid1(VALU_DEP_3)
	v_and_b32_e32 v16, 7, v5
	s_wait_alu 0xf1ff
	v_cndmask_b32_e64 v1, 0, 1, s0
	v_lshrrev_b32_e32 v5, 2, v5
	v_cmp_ne_u32_e64 s0, v15, v23
	v_lshrrev_b32_e32 v15, 8, v2
	v_cmp_lt_i32_e64 s1, 5, v16
	s_delay_alu instid0(VALU_DEP_2) | instskip(SKIP_4) | instid1(VALU_DEP_3)
	v_and_or_b32 v1, 0xffe, v15, v1
	s_wait_alu 0xf1ff
	v_cndmask_b32_e64 v15, 0, 1, s0
	v_cmp_eq_u32_e64 s0, 3, v16
	v_bfe_u32 v16, v24, 20, 11
	v_or_b32_e32 v4, v4, v15
	s_delay_alu instid0(VALU_DEP_3)
	s_or_b32 s0, s0, s1
	v_lshl_or_b32 v15, v18, 12, v13
	s_wait_alu 0xfffe
	v_add_co_ci_u32_e64 v5, s0, 0, v5, s0
	v_cmp_ne_u32_e64 s0, 0, v29
	v_lshl_or_b32 v29, v27, 12, v11
	s_wait_alu 0xf1ff
	s_delay_alu instid0(VALU_DEP_2) | instskip(SKIP_1) | instid1(VALU_DEP_2)
	v_cndmask_b32_e64 v23, 0, 1, s0
	v_cmp_gt_i32_e64 s0, 1, v18
	v_lshl_or_b32 v23, v23, 9, 0x7c00
	s_wait_alu 0xf1ff
	s_delay_alu instid0(VALU_DEP_2) | instskip(SKIP_3) | instid1(VALU_DEP_2)
	v_cndmask_b32_e64 v4, v15, v4, s0
	v_cmp_gt_i32_e64 s0, 31, v17
	v_sub_nc_u32_e32 v15, 0x3f1, v16
	s_wait_alu 0xf1ff
	v_cndmask_b32_e64 v5, 0x7c00, v5, s0
	v_cmp_eq_u32_e64 s0, 0x40f, v17
	v_and_b32_e32 v17, 7, v4
	v_lshrrev_b32_e32 v4, 2, v4
	v_med3_i32 v15, v15, 0, 13
	s_wait_alu 0xf1ff
	v_cndmask_b32_e64 v23, v5, v23, s0
	v_cmp_lt_i32_e64 s0, 5, v17
	v_cmp_eq_u32_e64 s1, 3, v17
	v_lshrrev_b32_e32 v17, v15, v25
	s_delay_alu instid0(VALU_DEP_4) | instskip(NEXT) | instid1(VALU_DEP_3)
	v_and_or_b32 v12, 0x8000, v12, v23
	s_or_b32 s0, s1, s0
	s_delay_alu instid0(VALU_DEP_2)
	v_lshlrev_b32_e32 v15, v15, v17
	s_wait_alu 0xfffe
	v_add_co_ci_u32_e64 v4, s0, 0, v4, s0
	v_cmp_ne_u32_e64 s0, 0, v13
	s_wait_alu 0xfffd
	v_cndmask_b32_e64 v13, 0, 1, vcc_lo
	v_cmp_gt_i32_e32 vcc_lo, 31, v18
	v_cmp_gt_i32_e64 s1, 31, v27
	v_and_b32_e32 v12, 0xffff, v12
	s_wait_alu 0xf1ff
	v_cndmask_b32_e64 v5, 0, 1, s0
	v_or_b32_e32 v13, v19, v13
	s_wait_alu 0xfffd
	v_cndmask_b32_e32 v4, 0x7c00, v4, vcc_lo
	v_cmp_eq_u32_e32 vcc_lo, 0x40f, v18
	ds_load_2addr_b32 v[18:19], v158 offset0:2 offset1:245
	v_lshl_or_b32 v5, v5, 9, 0x7c00
	s_wait_alu 0xfffd
	s_delay_alu instid0(VALU_DEP_1)
	v_cndmask_b32_e32 v30, v4, v5, vcc_lo
	v_cvt_f64_f32_e32 v[4:5], v22
	v_cmp_gt_i32_e32 vcc_lo, 1, v27
	v_add_nc_u32_e32 v22, 0xfffffc10, v16
	v_sub_nc_u32_e32 v16, 0x3f1, v28
	v_and_or_b32 v14, 0x8000, v14, v30
	s_wait_alu 0xfffd
	v_dual_cndmask_b32 v13, v29, v13 :: v_dual_add_nc_u32 v28, 0xfffffc10, v28
	v_cmp_ne_u32_e32 vcc_lo, v15, v25
	v_cmp_gt_i32_e64 s0, 1, v22
	v_med3_i32 v29, v16, 0, 13
	v_lshl_or_b32 v14, v14, 16, v12
	v_and_b32_e32 v25, 7, v13
	s_wait_alu 0xfffd
	v_cndmask_b32_e64 v15, 0, 1, vcc_lo
	s_wait_dscnt 0x0
	v_lshrrev_b32_e32 v31, 16, v18
	v_lshrrev_b32_e32 v13, 2, v13
	global_store_b32 v[20:21], v14, off
	v_cmp_lt_i32_e32 vcc_lo, 5, v25
	v_or_b32_e32 v15, v17, v15
	v_lshl_or_b32 v17, v22, 12, v26
	s_wait_alu 0xf1ff
	s_delay_alu instid0(VALU_DEP_1)
	v_cndmask_b32_e64 v15, v17, v15, s0
	v_cmp_eq_u32_e64 s0, 3, v25
	v_mul_f16_e32 v17, v35, v31
	v_lshrrev_b32_e32 v25, 16, v3
	v_bfe_u32 v3, v2, 20, 11
	v_and_b32_e32 v16, 7, v15
	s_or_b32 vcc_lo, s0, vcc_lo
	v_fmac_f16_e32 v17, v36, v18
	s_wait_alu 0xfffe
	v_add_co_ci_u32_e32 v13, vcc_lo, 0, v13, vcc_lo
	v_cmp_ne_u32_e32 vcc_lo, 0, v11
	v_cmp_eq_u32_e64 s0, 3, v16
	v_cvt_f32_f16_e32 v23, v17
	v_lshrrev_b32_e32 v15, 2, v15
	v_cndmask_b32_e64 v13, 0x7c00, v13, s1
	s_wait_alu 0xfffd
	v_cndmask_b32_e64 v11, 0, 1, vcc_lo
	v_cmp_lt_i32_e32 vcc_lo, 5, v16
	v_mul_f64_e32 v[16:17], s[10:11], v[4:5]
	v_cmp_eq_u32_e64 s1, 0x40f, v27
	v_cvt_f64_f32_e32 v[4:5], v23
	v_lshl_or_b32 v11, v11, 9, 0x7c00
	s_or_b32 vcc_lo, s0, vcc_lo
	v_lshrrev_b32_e32 v27, v29, v32
	s_wait_alu 0xfffe
	v_add_co_ci_u32_e32 v15, vcc_lo, 0, v15, vcc_lo
	v_cmp_ne_u32_e32 vcc_lo, 0, v26
	v_cndmask_b32_e64 v11, v13, v11, s1
	v_lshlrev_b32_e32 v29, v29, v27
	v_bfe_u32 v13, v8, 20, 11
	v_cmp_gt_i32_e64 s1, 31, v28
	s_wait_alu 0xfffd
	v_cndmask_b32_e64 v23, 0, 1, vcc_lo
	v_cmp_gt_i32_e32 vcc_lo, 31, v22
	v_and_or_b32 v11, 0x8000, v25, v11
	v_sub_nc_u32_e32 v26, 0x3f1, v13
	v_lshrrev_b32_e32 v8, 16, v8
	v_lshl_or_b32 v23, v23, 9, 0x7c00
	s_wait_alu 0xfffd
	v_cndmask_b32_e32 v15, 0x7c00, v15, vcc_lo
	v_cmp_eq_u32_e32 vcc_lo, 0x40f, v22
	v_and_b32_e32 v11, 0xffff, v11
	v_med3_i32 v22, v26, 0, 13
	v_or_b32_e32 v26, 0x1000, v7
	s_wait_alu 0xfffd
	v_cndmask_b32_e32 v15, v15, v23, vcc_lo
	v_lshrrev_b32_e32 v23, 16, v24
	v_sub_nc_u32_e32 v24, 0x3f1, v3
	v_lshrrev_b32_e32 v30, v22, v26
	s_delay_alu instid0(VALU_DEP_3) | instskip(NEXT) | instid1(VALU_DEP_3)
	v_and_or_b32 v15, 0x8000, v23, v15
	v_med3_i32 v33, v24, 0, 13
	s_delay_alu instid0(VALU_DEP_3) | instskip(SKIP_1) | instid1(VALU_DEP_4)
	v_lshlrev_b32_e32 v34, v22, v30
	v_or_b32_e32 v23, 0x1000, v1
	v_lshl_or_b32 v15, v15, 16, v11
	v_add_co_u32 v11, vcc_lo, v20, s14
	s_wait_alu 0xfffd
	v_add_co_ci_u32_e32 v12, vcc_lo, s15, v21, vcc_lo
	v_and_or_b32 v14, 0x1ff, v17, v16
	s_delay_alu instid0(VALU_DEP_3) | instskip(SKIP_1) | instid1(VALU_DEP_3)
	v_add_co_u32 v24, vcc_lo, v11, s8
	s_wait_alu 0xfffd
	v_add_co_ci_u32_e32 v25, vcc_lo, s9, v12, vcc_lo
	s_delay_alu instid0(VALU_DEP_3)
	v_cmp_ne_u32_e32 vcc_lo, 0, v14
	global_store_b32 v[11:12], v15, off
	v_mul_f16_e32 v15, v35, v18
	scratch_load_b32 v35, off, off offset:88 th:TH_LOAD_LU ; 4-byte Folded Reload
	v_lshrrev_b32_e32 v16, 16, v9
	s_wait_alu 0xfffd
	v_cndmask_b32_e64 v14, 0, 1, vcc_lo
	v_cmp_ne_u32_e32 vcc_lo, v29, v32
	scratch_load_b32 v32, off, off offset:92 th:TH_LOAD_LU ; 4-byte Folded Reload
	v_fma_f16 v11, v36, v31, -v15
	scratch_load_b32 v36, off, off offset:84 th:TH_LOAD_LU ; 4-byte Folded Reload
	v_lshrrev_b32_e32 v15, 8, v17
	s_wait_alu 0xfffd
	v_cndmask_b32_e64 v18, 0, 1, vcc_lo
	v_bfe_u32 v21, v17, 20, 11
	v_cvt_f32_f16_e32 v11, v11
	v_cmp_gt_i32_e32 vcc_lo, 1, v28
	v_and_or_b32 v22, 0xffe, v15, v14
	v_or_b32_e32 v15, v27, v18
	v_lshl_or_b32 v18, v28, 12, v10
	v_cvt_f64_f32_e32 v[11:12], v11
	v_sub_nc_u32_e32 v14, 0x3f1, v21
	v_mul_f64_e32 v[4:5], s[10:11], v[4:5]
	v_lshrrev_b32_e32 v20, v33, v23
	s_wait_alu 0xfffd
	v_cndmask_b32_e32 v15, v18, v15, vcc_lo
	v_cmp_ne_u32_e32 vcc_lo, v34, v26
	v_med3_i32 v31, v14, 0, 13
	v_add_nc_u32_e32 v26, 0xfffffc10, v13
	v_lshrrev_b32_e32 v34, 16, v19
	v_lshlrev_b32_e32 v27, v33, v20
	s_wait_alu 0xfffd
	v_cndmask_b32_e64 v18, 0, 1, vcc_lo
	v_add_nc_u32_e32 v21, 0xfffffc10, v21
	v_cmp_gt_i32_e64 s0, 1, v26
	s_delay_alu instid0(VALU_DEP_3) | instskip(SKIP_2) | instid1(VALU_DEP_1)
	v_or_b32_e32 v18, v30, v18
	v_lshl_or_b32 v30, v26, 12, v7
	s_wait_alu 0xf1ff
	v_cndmask_b32_e64 v18, v30, v18, s0
	v_mul_f64_e32 v[11:12], s[10:11], v[11:12]
	v_and_or_b32 v4, 0x1ff, v5, v4
	s_wait_loadcnt 0x1
	v_mul_f16_e32 v29, v32, v16
	s_delay_alu instid0(VALU_DEP_1) | instskip(SKIP_2) | instid1(VALU_DEP_3)
	v_fmac_f16_e32 v29, v35, v9
	v_mul_f16_e32 v9, v32, v9
	v_or_b32_e32 v32, 0x1000, v22
	v_cvt_f32_f16_e32 v14, v29
	v_and_b32_e32 v29, 7, v15
	s_delay_alu instid0(VALU_DEP_4)
	v_fma_f16 v9, v35, v16, -v9
	v_lshrrev_b32_e32 v15, 2, v15
	v_bfe_u32 v35, v12, 20, 11
	v_cvt_f64_f32_e32 v[13:14], v14
	v_cmp_lt_i32_e32 vcc_lo, 5, v29
	v_cmp_eq_u32_e64 s0, 3, v29
	v_cvt_f32_f16_e32 v9, v9
	v_and_b32_e32 v29, 7, v18
	v_lshrrev_b32_e32 v18, 2, v18
	s_delay_alu instid0(VALU_DEP_4)
	s_or_b32 vcc_lo, s0, vcc_lo
	s_wait_alu 0xfffe
	v_add_co_ci_u32_e32 v30, vcc_lo, 0, v15, vcc_lo
	v_cmp_ne_u32_e32 vcc_lo, 0, v10
	v_cvt_f64_f32_e32 v[15:16], v9
	v_cmp_eq_u32_e64 s0, 3, v29
	s_wait_alu 0xfffd
	v_cndmask_b32_e64 v9, 0, 1, vcc_lo
	v_cmp_lt_i32_e32 vcc_lo, 5, v29
	v_cndmask_b32_e64 v29, 0x7c00, v30, s1
	s_delay_alu instid0(VALU_DEP_3)
	v_lshl_or_b32 v30, v9, 9, 0x7c00
	s_or_b32 vcc_lo, s0, vcc_lo
	ds_load_2addr_b32 v[9:10], v147 offset0:10 offset1:253
	s_wait_alu 0xfffe
	v_add_co_ci_u32_e32 v18, vcc_lo, 0, v18, vcc_lo
	v_cmp_ne_u32_e32 vcc_lo, 0, v7
	s_wait_alu 0xfffd
	v_cndmask_b32_e64 v7, 0, 1, vcc_lo
	v_cmp_eq_u32_e32 vcc_lo, 0x40f, v28
	s_delay_alu instid0(VALU_DEP_2) | instskip(SKIP_4) | instid1(VALU_DEP_3)
	v_lshl_or_b32 v7, v7, 9, 0x7c00
	s_wait_alu 0xfffd
	v_cndmask_b32_e32 v28, v29, v30, vcc_lo
	v_cmp_gt_i32_e32 vcc_lo, 31, v26
	v_mul_f64_e32 v[13:14], s[10:11], v[13:14]
	v_and_or_b32 v6, 0x8000, v6, v28
	s_wait_alu 0xfffd
	v_cndmask_b32_e32 v18, 0x7c00, v18, vcc_lo
	v_cmp_ne_u32_e32 vcc_lo, 0, v4
	s_wait_dscnt 0x0
	v_lshrrev_b32_e32 v28, 16, v9
	v_and_b32_e32 v6, 0xffff, v6
	s_wait_alu 0xfffd
	v_cndmask_b32_e64 v4, 0, 1, vcc_lo
	v_cmp_eq_u32_e32 vcc_lo, 0x40f, v26
	v_mul_f64_e32 v[15:16], s[10:11], v[15:16]
	v_mul_f16_e32 v30, v38, v28
	v_bfe_u32 v26, v5, 20, 11
	s_wait_alu 0xfffd
	v_cndmask_b32_e32 v7, v18, v7, vcc_lo
	v_lshrrev_b32_e32 v18, 8, v5
	v_fmac_f16_e32 v30, v39, v9
	v_sub_nc_u32_e32 v29, 0x3f1, v26
	v_lshrrev_b32_e32 v5, 16, v5
	v_and_or_b32 v7, 0x8000, v8, v7
	v_and_or_b32 v18, 0xffe, v18, v4
	v_lshrrev_b32_e32 v8, v31, v32
	v_med3_i32 v29, v29, 0, 13
	s_delay_alu instid0(VALU_DEP_4)
	v_lshl_or_b32 v4, v7, 16, v6
	v_add_co_u32 v6, vcc_lo, v24, s14
	s_wait_alu 0xfffd
	v_add_co_ci_u32_e32 v7, vcc_lo, s15, v25, vcc_lo
	global_store_b32 v[24:25], v4, off
	v_and_or_b32 v4, 0x1ff, v12, v11
	v_cvt_f32_f16_e32 v11, v30
	s_wait_loadcnt 0x0
	v_mul_f16_e32 v30, v36, v34
	v_mul_f16_e32 v36, v36, v19
	v_lshlrev_b32_e32 v31, v31, v8
	v_cmp_ne_u32_e32 vcc_lo, 0, v4
	v_cvt_f64_f32_e32 v[24:25], v11
	v_lshrrev_b32_e32 v11, 8, v12
	v_and_or_b32 v13, 0x1ff, v14, v13
	v_fmac_f16_e32 v30, v40, v19
	s_wait_alu 0xfffd
	v_cndmask_b32_e64 v4, 0, 1, vcc_lo
	v_or_b32_e32 v33, 0x1000, v18
	v_fma_f16 v34, v40, v34, -v36
	v_cmp_ne_u32_e32 vcc_lo, 0, v13
	v_lshrrev_b32_e32 v13, 8, v14
	v_and_or_b32 v19, 0xffe, v11, v4
	v_sub_nc_u32_e32 v4, 0x3f1, v35
	v_cvt_f32_f16_e32 v30, v30
	s_wait_alu 0xfffd
	v_cndmask_b32_e64 v11, 0, 1, vcc_lo
	v_cmp_ne_u32_e32 vcc_lo, v27, v23
	v_lshrrev_b32_e32 v37, v29, v33
	v_med3_i32 v27, v4, 0, 13
	v_mul_f16_e32 v4, v38, v9
	v_add_nc_u32_e32 v38, 0xfffffc10, v3
	s_wait_alu 0xfffd
	v_cndmask_b32_e64 v9, 0, 1, vcc_lo
	v_cmp_ne_u32_e32 vcc_lo, v31, v32
	v_and_or_b32 v11, 0xffe, v13, v11
	v_fma_f16 v3, v39, v28, -v4
	v_and_or_b32 v4, 0x1ff, v16, v15
	v_or_b32_e32 v9, v20, v9
	s_wait_alu 0xfffd
	v_cndmask_b32_e64 v20, 0, 1, vcc_lo
	v_lshl_or_b32 v15, v38, 12, v1
	v_bfe_u32 v13, v14, 20, 11
	v_cmp_ne_u32_e32 vcc_lo, 0, v4
	v_cmp_gt_i32_e64 s1, 31, v38
	v_or_b32_e32 v8, v8, v20
	v_cvt_f32_f16_e32 v20, v3
	v_bfe_u32 v32, v16, 20, 11
	s_wait_alu 0xfffd
	v_cndmask_b32_e64 v28, 0, 1, vcc_lo
	v_cmp_gt_i32_e32 vcc_lo, 1, v38
	v_lshlrev_b32_e32 v23, v29, v37
	v_or_b32_e32 v29, 0x1000, v19
	v_lshrrev_b32_e32 v12, 16, v12
	s_wait_alu 0xfffd
	v_cndmask_b32_e32 v15, v15, v9, vcc_lo
	v_lshl_or_b32 v9, v21, 12, v22
	v_cmp_gt_i32_e32 vcc_lo, 1, v21
	v_mul_f64_e32 v[3:4], s[10:11], v[24:25]
	s_delay_alu instid0(VALU_DEP_4)
	v_and_b32_e32 v24, 7, v15
	v_lshrrev_b32_e32 v31, 2, v15
	s_wait_alu 0xfffd
	v_cndmask_b32_e32 v25, v9, v8, vcc_lo
	v_cvt_f64_f32_e32 v[8:9], v20
	v_lshrrev_b32_e32 v20, 8, v16
	v_cmp_lt_i32_e32 vcc_lo, 5, v24
	v_cmp_eq_u32_e64 s0, 3, v24
	v_sub_nc_u32_e32 v24, 0x3f1, v13
	v_add_nc_u32_e32 v13, 0xfffffc10, v13
	v_and_or_b32 v15, 0xffe, v20, v28
	v_and_b32_e32 v20, 7, v25
	s_or_b32 vcc_lo, s0, vcc_lo
	v_lshrrev_b32_e32 v25, 2, v25
	s_wait_alu 0xfffe
	v_add_co_ci_u32_e32 v28, vcc_lo, 0, v31, vcc_lo
	v_cmp_ne_u32_e32 vcc_lo, 0, v1
	v_cmp_eq_u32_e64 s0, 3, v20
	v_lshrrev_b32_e32 v31, v27, v29
	v_lshrrev_b32_e32 v16, 16, v16
	s_wait_alu 0xfffd
	v_cndmask_b32_e64 v1, 0, 1, vcc_lo
	v_cmp_lt_i32_e32 vcc_lo, 5, v20
	v_med3_i32 v20, v24, 0, 13
	v_cndmask_b32_e64 v24, 0x7c00, v28, s1
	v_cmp_eq_u32_e64 s1, 0x40f, v38
	v_lshl_or_b32 v1, v1, 9, 0x7c00
	s_or_b32 vcc_lo, s0, vcc_lo
	v_sub_nc_u32_e32 v38, 0x3f1, v32
	s_wait_alu 0xfffe
	v_add_co_ci_u32_e32 v25, vcc_lo, 0, v25, vcc_lo
	v_cmp_ne_u32_e32 vcc_lo, 0, v22
	v_cndmask_b32_e64 v24, v24, v1, s1
	v_or_b32_e32 v28, 0x1000, v11
	v_cmp_ne_u32_e64 s1, 0, v18
	v_add_nc_u32_e32 v32, 0xfffffc10, v32
	s_wait_alu 0xfffd
	v_cndmask_b32_e64 v22, 0, 1, vcc_lo
	v_cmp_gt_i32_e32 vcc_lo, 31, v21
	v_and_or_b32 v3, 0x1ff, v4, v3
	v_lshrrev_b32_e32 v39, v20, v28
	v_lshrrev_b32_e32 v44, 16, v4
	v_lshl_or_b32 v22, v22, 9, 0x7c00
	s_wait_alu 0xfffd
	v_cndmask_b32_e32 v1, 0x7c00, v25, vcc_lo
	v_cmp_eq_u32_e32 vcc_lo, 0x40f, v21
	v_lshrrev_b32_e32 v25, 16, v2
	s_wait_alu 0xfffd
	s_delay_alu instid0(VALU_DEP_3)
	v_cndmask_b32_e32 v21, v1, v22, vcc_lo
	v_mul_f64_e32 v[1:2], s[10:11], v[8:9]
	v_lshrrev_b32_e32 v8, 16, v17
	v_and_or_b32 v9, 0x8000, v25, v24
	v_cmp_ne_u32_e32 vcc_lo, 0, v3
	v_med3_i32 v22, v38, 0, 13
	v_or_b32_e32 v17, 0x1000, v15
	v_and_or_b32 v21, 0x8000, v8, v21
	v_and_b32_e32 v36, 0xffff, v9
	v_cvt_f64_f32_e32 v[8:9], v30
	s_wait_alu 0xfffd
	v_cndmask_b32_e64 v3, 0, 1, vcc_lo
	v_lshrrev_b32_e32 v24, 8, v4
	v_bfe_u32 v25, v4, 20, 11
	v_cmp_ne_u32_e32 vcc_lo, v23, v33
	v_lshl_or_b32 v21, v21, 16, v36
	v_lshrrev_b32_e32 v30, v22, v17
	v_and_or_b32 v3, 0xffe, v24, v3
	v_sub_nc_u32_e32 v24, 0x3f1, v25
	v_lshlrev_b32_e32 v38, v27, v31
	v_lshlrev_b32_e32 v36, v20, v39
	s_wait_alu 0xfffd
	v_cndmask_b32_e64 v23, 0, 1, vcc_lo
	v_add_co_u32 v20, vcc_lo, v6, s14
	global_store_b32 v[6:7], v21, off
	s_wait_alu 0xfffd
	v_add_co_ci_u32_e32 v21, vcc_lo, s15, v7, vcc_lo
	v_lshlrev_b32_e32 v40, v22, v30
	v_med3_i32 v22, v24, 0, 13
	v_add_nc_u32_e32 v24, 0xfffffc10, v26
	v_cmp_ne_u32_e32 vcc_lo, v38, v29
	v_or_b32_e32 v6, v37, v23
	v_add_nc_u32_e32 v29, 0xfffffc10, v35
	v_or_b32_e32 v41, 0x1000, v3
	v_lshl_or_b32 v7, v24, 12, v18
	s_wait_alu 0xfffd
	v_cndmask_b32_e64 v23, 0, 1, vcc_lo
	v_cmp_gt_i32_e32 vcc_lo, 1, v24
	s_wait_alu 0xf1ff
	v_cndmask_b32_e64 v18, 0, 1, s1
	v_cmp_gt_i32_e64 s1, 31, v24
	v_lshrrev_b32_e32 v27, v22, v41
	v_and_or_b32 v1, 0x1ff, v2, v1
	s_wait_alu 0xfffd
	v_cndmask_b32_e32 v33, v7, v6, vcc_lo
	v_or_b32_e32 v6, v31, v23
	v_lshl_or_b32 v7, v29, 12, v19
	v_lshrrev_b32_e32 v31, 8, v2
	v_cmp_ne_u32_e32 vcc_lo, 0, v1
	v_and_b32_e32 v23, 7, v33
	v_lshl_or_b32 v18, v18, 9, 0x7c00
	v_bfe_u32 v26, v2, 20, 11
	v_lshrrev_b32_e32 v2, 16, v2
	s_wait_alu 0xfffd
	v_cndmask_b32_e64 v1, 0, 1, vcc_lo
	v_cmp_gt_i32_e32 vcc_lo, 1, v29
	v_cmp_eq_u32_e64 s0, 3, v23
	s_delay_alu instid0(VALU_DEP_3)
	v_and_or_b32 v1, 0xffe, v31, v1
	s_wait_alu 0xfffd
	v_cndmask_b32_e32 v35, v7, v6, vcc_lo
	v_mul_f64_e32 v[6:7], s[10:11], v[8:9]
	v_cmp_lt_i32_e32 vcc_lo, 5, v23
	v_lshrrev_b32_e32 v8, 2, v33
	v_sub_nc_u32_e32 v23, 0x3f1, v26
	v_and_b32_e32 v9, 7, v35
	v_lshrrev_b32_e32 v33, 2, v35
	s_or_b32 vcc_lo, s0, vcc_lo
	v_or_b32_e32 v35, 0x1000, v1
	s_wait_alu 0xfffe
	v_add_co_ci_u32_e32 v31, vcc_lo, 0, v8, vcc_lo
	v_cmp_lt_i32_e32 vcc_lo, 5, v9
	v_cmp_eq_u32_e64 s0, 3, v9
	ds_load_2addr_b32 v[8:9], v141 offset0:2 offset1:245
	v_cndmask_b32_e64 v31, 0x7c00, v31, s1
	v_med3_i32 v23, v23, 0, 13
	v_add_nc_u32_e32 v26, 0xfffffc10, v26
	s_or_b32 vcc_lo, s0, vcc_lo
	s_wait_alu 0xfffe
	v_add_co_ci_u32_e32 v33, vcc_lo, 0, v33, vcc_lo
	v_cmp_ne_u32_e32 vcc_lo, 0, v19
	s_wait_alu 0xfffd
	v_cndmask_b32_e64 v19, 0, 1, vcc_lo
	v_cmp_eq_u32_e32 vcc_lo, 0x40f, v24
	s_delay_alu instid0(VALU_DEP_2) | instskip(SKIP_4) | instid1(VALU_DEP_3)
	v_lshl_or_b32 v19, v19, 9, 0x7c00
	s_wait_alu 0xfffd
	v_cndmask_b32_e32 v18, v31, v18, vcc_lo
	v_cmp_gt_i32_e32 vcc_lo, 31, v29
	v_lshrrev_b32_e32 v31, v23, v35
	v_and_or_b32 v18, 0x8000, v5, v18
	s_wait_alu 0xfffd
	v_cndmask_b32_e32 v24, 0x7c00, v33, vcc_lo
	v_cmp_eq_u32_e32 vcc_lo, 0x40f, v29
	s_wait_dscnt 0x0
	v_lshrrev_b32_e32 v33, 16, v8
	v_lshlrev_b32_e32 v37, v23, v31
	s_wait_alu 0xfffd
	v_dual_cndmask_b32 v19, v24, v19 :: v_dual_and_b32 v18, 0xffff, v18
	v_cvt_f32_f16_e32 v24, v34
	v_and_or_b32 v34, 0x1ff, v7, v6
	v_mul_f16_e32 v29, v43, v33
	s_delay_alu instid0(VALU_DEP_4) | instskip(NEXT) | instid1(VALU_DEP_4)
	v_and_or_b32 v12, 0x8000, v12, v19
	v_cvt_f64_f32_e32 v[5:6], v24
	s_delay_alu instid0(VALU_DEP_4) | instskip(NEXT) | instid1(VALU_DEP_4)
	v_cmp_ne_u32_e32 vcc_lo, 0, v34
	v_fmac_f16_e32 v29, v42, v8
	v_mul_f16_e32 v8, v43, v8
	v_lshl_or_b32 v38, v12, 16, v18
	v_lshlrev_b32_e32 v34, v22, v27
	s_wait_alu 0xfffd
	v_cndmask_b32_e64 v19, 0, 1, vcc_lo
	v_cmp_ne_u32_e32 vcc_lo, v36, v28
	v_fma_f16 v8, v42, v33, -v8
	scratch_load_b32 v42, off, off offset:56 th:TH_LOAD_LU ; 4-byte Folded Reload
	v_cvt_f32_f16_e32 v29, v29
	v_lshl_or_b32 v18, v13, 12, v11
	s_wait_alu 0xfffd
	v_cndmask_b32_e64 v12, 0, 1, vcc_lo
	v_cmp_ne_u32_e32 vcc_lo, v40, v17
	scratch_load_b32 v40, off, off offset:60 th:TH_LOAD_LU ; 4-byte Folded Reload
	v_cvt_f64_f32_e32 v[22:23], v29
	v_lshrrev_b32_e32 v24, 8, v7
	v_or_b32_e32 v12, v39, v12
	s_wait_alu 0xfffd
	v_cndmask_b32_e64 v17, 0, 1, vcc_lo
	v_cmp_gt_i32_e32 vcc_lo, 1, v13
	v_lshrrev_b32_e32 v33, 16, v10
	v_and_or_b32 v19, 0xffe, v24, v19
	v_lshl_or_b32 v24, v32, 12, v15
	v_or_b32_e32 v17, v30, v17
	s_wait_alu 0xfffd
	v_cndmask_b32_e32 v12, v18, v12, vcc_lo
	v_cmp_gt_i32_e32 vcc_lo, 1, v32
	v_cvt_f32_f16_e32 v8, v8
	global_store_b32 v[20:21], v38, off
	s_wait_alu 0xfffd
	v_dual_cndmask_b32 v36, v24, v17 :: v_dual_and_b32 v39, 7, v12
	v_cvt_f64_f32_e32 v[28:29], v8
	v_lshrrev_b32_e32 v12, 2, v12
	v_bfe_u32 v24, v7, 20, 11
	s_delay_alu instid0(VALU_DEP_4) | instskip(SKIP_4) | instid1(VALU_DEP_4)
	v_cmp_lt_i32_e32 vcc_lo, 5, v39
	v_cmp_eq_u32_e64 s0, 3, v39
	v_and_b32_e32 v8, 7, v36
	v_lshrrev_b32_e32 v7, 16, v7
	v_mul_f64_e32 v[17:18], s[10:11], v[5:6]
	s_or_b32 vcc_lo, s0, vcc_lo
	s_delay_alu instid0(VALU_DEP_3)
	v_cmp_lt_i32_e64 s1, 5, v8
	v_cmp_eq_u32_e64 s2, 3, v8
	s_wait_alu 0xfffe
	v_add_co_ci_u32_e32 v8, vcc_lo, 0, v12, vcc_lo
	v_cmp_ne_u32_e32 vcc_lo, 0, v11
	v_mul_f64_e32 v[11:12], s[10:11], v[22:23]
	v_and_or_b32 v17, 0x1ff, v18, v17
	s_delay_alu instid0(VALU_DEP_2) | instskip(SKIP_2) | instid1(VALU_DEP_1)
	v_and_or_b32 v11, 0x1ff, v12, v11
	s_wait_loadcnt 0x0
	v_mul_f16_e32 v30, v40, v33
	v_fmac_f16_e32 v30, v42, v10
	v_mul_f16_e32 v10, v40, v10
	s_delay_alu instid0(VALU_DEP_2)
	v_cvt_f32_f16_e32 v5, v30
	v_lshrrev_b32_e32 v30, 2, v36
	s_wait_alu 0xfffd
	v_cndmask_b32_e64 v36, 0, 1, vcc_lo
	s_or_b32 vcc_lo, s2, s1
	v_fma_f16 v33, v42, v33, -v10
	v_cvt_f64_f32_e32 v[5:6], v5
	s_wait_alu 0xfffe
	v_add_co_ci_u32_e32 v22, vcc_lo, 0, v30, vcc_lo
	v_cmp_ne_u32_e32 vcc_lo, 0, v15
	v_lshl_or_b32 v23, v36, 9, 0x7c00
	v_bfe_u32 v30, v18, 20, 11
	s_wait_alu 0xfffd
	v_cndmask_b32_e64 v15, 0, 1, vcc_lo
	v_cmp_gt_i32_e32 vcc_lo, 31, v13
	s_delay_alu instid0(VALU_DEP_2)
	v_lshl_or_b32 v15, v15, 9, 0x7c00
	s_wait_alu 0xfffd
	v_cndmask_b32_e32 v8, 0x7c00, v8, vcc_lo
	v_cmp_gt_i32_e32 vcc_lo, 31, v32
	s_wait_alu 0xfffd
	v_cndmask_b32_e32 v22, 0x7c00, v22, vcc_lo
	v_cmp_eq_u32_e32 vcc_lo, 0x40f, v13
	v_lshrrev_b32_e32 v13, 16, v14
	s_wait_alu 0xfffd
	v_cndmask_b32_e32 v8, v8, v23, vcc_lo
	v_cmp_eq_u32_e32 vcc_lo, 0x40f, v32
	v_sub_nc_u32_e32 v23, 0x3f1, v24
	v_or_b32_e32 v32, 0x1000, v19
	v_add_nc_u32_e32 v24, 0xfffffc10, v24
	v_and_or_b32 v8, 0x8000, v13, v8
	v_mul_f64_e32 v[13:14], s[10:11], v[28:29]
	s_wait_alu 0xfffd
	v_cndmask_b32_e32 v15, v22, v15, vcc_lo
	v_med3_i32 v22, v23, 0, 13
	v_and_b32_e32 v8, 0xffff, v8
	v_mul_f64_e32 v[5:6], s[10:11], v[5:6]
	s_delay_alu instid0(VALU_DEP_4)
	v_and_or_b32 v23, 0x8000, v16, v15
	v_add_co_u32 v15, vcc_lo, v20, s8
	s_wait_alu 0xfffd
	v_add_co_ci_u32_e32 v16, vcc_lo, s9, v21, vcc_lo
	v_cmp_ne_u32_e32 vcc_lo, 0, v17
	v_lshl_or_b32 v8, v23, 16, v8
	v_lshrrev_b32_e32 v20, 8, v18
	v_lshrrev_b32_e32 v36, v22, v32
	;; [unrolled: 1-line block ×3, first 2 shown]
	s_wait_alu 0xfffd
	v_cndmask_b32_e64 v17, 0, 1, vcc_lo
	v_cmp_ne_u32_e32 vcc_lo, 0, v11
	global_store_b32 v[15:16], v8, off
	v_sub_nc_u32_e32 v8, 0x3f1, v30
	v_lshlrev_b32_e32 v38, v22, v36
	v_and_or_b32 v28, 0xffe, v20, v17
	s_wait_alu 0xfffd
	v_cndmask_b32_e64 v11, 0, 1, vcc_lo
	v_add_co_u32 v15, vcc_lo, v15, s14
	s_wait_alu 0xfffd
	v_add_co_ci_u32_e32 v16, vcc_lo, s15, v16, vcc_lo
	v_lshrrev_b32_e32 v17, 8, v12
	v_bfe_u32 v20, v12, 20, 11
	v_med3_i32 v8, v8, 0, 13
	v_or_b32_e32 v39, 0x1000, v28
	v_cmp_ne_u32_e64 s1, v38, v32
	v_and_or_b32 v17, 0xffe, v17, v11
	v_sub_nc_u32_e32 v21, 0x3f1, v20
	v_add_nc_u32_e32 v30, 0xfffffc10, v30
	v_lshrrev_b32_e32 v40, v8, v39
	s_wait_alu 0xf1ff
	v_cndmask_b32_e64 v32, 0, 1, s1
	v_and_or_b32 v13, 0x1ff, v14, v13
	v_med3_i32 v11, v21, 0, 13
	v_or_b32_e32 v23, 0x1000, v17
	v_bfe_u32 v22, v14, 20, 11
	v_lshlrev_b32_e32 v43, v8, v40
	v_cmp_ne_u32_e32 vcc_lo, 0, v13
	v_lshrrev_b32_e32 v13, 8, v14
	v_lshrrev_b32_e32 v21, v11, v23
	v_sub_nc_u32_e32 v29, 0x3f1, v22
	v_cmp_gt_i32_e64 s1, 31, v24
	s_wait_alu 0xfffd
	v_cndmask_b32_e64 v10, 0, 1, vcc_lo
	v_cmp_ne_u32_e32 vcc_lo, v34, v41
	v_add_nc_u32_e32 v41, 0xfffffc10, v25
	v_and_or_b32 v25, 0x1ff, v6, v5
	v_med3_i32 v42, v29, 0, 13
	v_and_or_b32 v5, 0xffe, v13, v10
	s_wait_alu 0xfffd
	v_cndmask_b32_e64 v34, 0, 1, vcc_lo
	v_lshl_or_b32 v13, v41, 12, v3
	v_cmp_ne_u32_e32 vcc_lo, 0, v25
	v_lshlrev_b32_e32 v29, v11, v21
	v_add_nc_u32_e32 v20, 0xfffffc10, v20
	v_or_b32_e32 v10, v27, v34
	v_lshrrev_b32_e32 v34, 8, v6
	s_wait_alu 0xfffd
	v_cndmask_b32_e64 v25, 0, 1, vcc_lo
	v_cmp_gt_i32_e32 vcc_lo, 1, v41
	v_or_b32_e32 v27, 0x1000, v5
	v_add_nc_u32_e32 v22, 0xfffffc10, v22
	v_lshrrev_b32_e32 v12, 16, v12
	v_and_or_b32 v8, 0xffe, v34, v25
	s_wait_alu 0xfffd
	v_cndmask_b32_e32 v10, v13, v10, vcc_lo
	v_cmp_ne_u32_e32 vcc_lo, v37, v35
	v_lshl_or_b32 v35, v26, 12, v1
	v_lshrrev_b32_e32 v25, v42, v27
	v_lshrrev_b32_e32 v14, 16, v14
	v_and_b32_e32 v11, 7, v10
	s_wait_alu 0xfffd
	v_cndmask_b32_e64 v34, 0, 1, vcc_lo
	v_bfe_u32 v13, v6, 20, 11
	v_lshlrev_b32_e32 v37, v42, v25
	v_or_b32_e32 v42, 0x1000, v8
	v_cmp_lt_i32_e32 vcc_lo, 5, v11
	v_cmp_eq_u32_e64 s0, 3, v11
	v_or_b32_e32 v31, v31, v34
	v_lshrrev_b32_e32 v34, 2, v10
	ds_load_2addr_b32 v[10:11], v142 offset0:8 offset1:251
	v_lshrrev_b32_e32 v6, 16, v6
	s_or_b32 vcc_lo, s0, vcc_lo
	s_wait_alu 0xfffe
	v_add_co_ci_u32_e32 v34, vcc_lo, 0, v34, vcc_lo
	v_cmp_ne_u32_e32 vcc_lo, 0, v3
	s_wait_alu 0xfffd
	v_cndmask_b32_e64 v3, 0, 1, vcc_lo
	v_cmp_gt_i32_e32 vcc_lo, 1, v26
	s_delay_alu instid0(VALU_DEP_2)
	v_lshl_or_b32 v3, v3, 9, 0x7c00
	s_wait_alu 0xfffd
	v_cndmask_b32_e32 v31, v35, v31, vcc_lo
	v_cmp_gt_i32_e32 vcc_lo, 31, v41
	v_sub_nc_u32_e32 v35, 0x3f1, v13
	s_wait_dscnt 0x0
	v_lshrrev_b32_e32 v45, 16, v10
	v_add_nc_u32_e32 v13, 0xfffffc10, v13
	s_wait_alu 0xfffd
	v_cndmask_b32_e32 v34, 0x7c00, v34, vcc_lo
	v_cmp_eq_u32_e32 vcc_lo, 0x40f, v41
	v_and_b32_e32 v41, 7, v31
	v_lshrrev_b32_e32 v31, 2, v31
	v_med3_i32 v35, v35, 0, 13
	s_wait_alu 0xfffd
	v_cndmask_b32_e32 v34, v34, v3, vcc_lo
	v_cmp_lt_i32_e32 vcc_lo, 5, v41
	v_cmp_eq_u32_e64 s0, 3, v41
	scratch_load_b32 v41, off, off offset:52 th:TH_LOAD_LU ; 4-byte Folded Reload
	v_cvt_f32_f16_e32 v3, v33
	v_and_or_b32 v34, 0x8000, v44, v34
	s_or_b32 vcc_lo, s0, vcc_lo
	s_wait_alu 0xfffe
	v_add_co_ci_u32_e32 v38, vcc_lo, 0, v31, vcc_lo
	v_cmp_ne_u32_e32 vcc_lo, 0, v1
	v_cvt_f64_f32_e32 v[3:4], v3
	v_or_b32_e32 v31, v36, v32
	v_lshl_or_b32 v32, v24, 12, v19
	s_wait_alu 0xfffd
	v_cndmask_b32_e64 v1, 0, 1, vcc_lo
	v_cmp_gt_i32_e32 vcc_lo, 1, v24
	s_delay_alu instid0(VALU_DEP_2)
	v_lshl_or_b32 v1, v1, 9, 0x7c00
	s_wait_alu 0xfffd
	v_cndmask_b32_e32 v36, v32, v31, vcc_lo
	v_cmp_gt_i32_e32 vcc_lo, 31, v26
	s_wait_loadcnt 0x0
	v_mul_f16_e32 v33, v41, v45
	s_delay_alu instid0(VALU_DEP_1) | instskip(SKIP_1) | instid1(VALU_DEP_2)
	v_fmac_f16_e32 v33, v46, v10
	v_mul_f16_e32 v10, v41, v10
	v_cvt_f32_f16_e32 v33, v33
	s_delay_alu instid0(VALU_DEP_2) | instskip(NEXT) | instid1(VALU_DEP_2)
	v_fma_f16 v10, v46, v45, -v10
	v_cvt_f64_f32_e32 v[31:32], v33
	s_wait_alu 0xfffd
	v_cndmask_b32_e32 v33, 0x7c00, v38, vcc_lo
	v_cmp_ne_u32_e32 vcc_lo, v43, v39
	v_lshrrev_b32_e32 v39, v35, v42
	s_wait_alu 0xfffd
	v_cndmask_b32_e64 v38, 0, 1, vcc_lo
	v_cmp_eq_u32_e32 vcc_lo, 0x40f, v26
	s_delay_alu instid0(VALU_DEP_2)
	v_or_b32_e32 v26, v40, v38
	s_wait_alu 0xfffd
	v_cndmask_b32_e32 v1, v33, v1, vcc_lo
	v_lshl_or_b32 v33, v30, 12, v28
	v_and_b32_e32 v38, 7, v36
	v_cmp_gt_i32_e32 vcc_lo, 1, v30
	s_delay_alu instid0(VALU_DEP_4) | instskip(SKIP_1) | instid1(VALU_DEP_4)
	v_and_or_b32 v1, 0x8000, v2, v1
	v_lshrrev_b32_e32 v2, 2, v36
	v_cmp_eq_u32_e64 s0, 3, v38
	s_wait_alu 0xfffd
	v_cndmask_b32_e32 v26, v33, v26, vcc_lo
	v_cmp_lt_i32_e32 vcc_lo, 5, v38
	v_and_b32_e32 v36, 0xffff, v34
	v_mul_f64_e32 v[33:34], s[10:11], v[3:4]
	s_delay_alu instid0(VALU_DEP_4) | instskip(SKIP_1) | instid1(VALU_DEP_3)
	v_and_b32_e32 v38, 7, v26
	s_or_b32 vcc_lo, s0, vcc_lo
	v_lshl_or_b32 v1, v1, 16, v36
	s_wait_alu 0xfffe
	v_add_co_ci_u32_e32 v2, vcc_lo, 0, v2, vcc_lo
	v_cmp_lt_i32_e32 vcc_lo, 5, v38
	v_cmp_eq_u32_e64 s0, 3, v38
	global_store_b32 v[15:16], v1, off
	v_cndmask_b32_e64 v4, 0x7c00, v2, s1
	v_lshrrev_b32_e32 v2, 2, v26
	v_cmp_ne_u32_e64 s1, 0, v19
	s_or_b32 vcc_lo, s0, vcc_lo
	scratch_load_b32 v38, off, off offset:32 th:TH_LOAD_LU ; 4-byte Folded Reload
	s_wait_alu 0xfffe
	v_add_co_ci_u32_e32 v26, vcc_lo, 0, v2, vcc_lo
	v_mul_f64_e32 v[2:3], s[10:11], v[31:32]
	s_clause 0x1
	scratch_load_b32 v31, off, off offset:44 th:TH_LOAD_LU
	scratch_load_b32 v32, off, off offset:40 th:TH_LOAD_LU
	v_cmp_ne_u32_e32 vcc_lo, 0, v28
	v_cndmask_b32_e64 v19, 0, 1, s1
	s_wait_alu 0xfffd
	v_cndmask_b32_e64 v28, 0, 1, vcc_lo
	v_cmp_gt_i32_e32 vcc_lo, 31, v30
	s_delay_alu instid0(VALU_DEP_3) | instskip(NEXT) | instid1(VALU_DEP_3)
	v_lshl_or_b32 v19, v19, 9, 0x7c00
	v_lshl_or_b32 v28, v28, 9, 0x7c00
	s_wait_alu 0xfffd
	v_cndmask_b32_e32 v26, 0x7c00, v26, vcc_lo
	v_cmp_eq_u32_e32 vcc_lo, 0x40f, v24
	v_lshlrev_b32_e32 v24, v35, v39
	s_wait_alu 0xfffd
	v_cndmask_b32_e32 v4, v4, v19, vcc_lo
	v_cmp_eq_u32_e32 vcc_lo, 0x40f, v30
	v_lshrrev_b32_e32 v30, 8, v34
	s_delay_alu instid0(VALU_DEP_3)
	v_and_or_b32 v4, 0x8000, v7, v4
	s_wait_alu 0xfffd
	v_cndmask_b32_e32 v19, v26, v28, vcc_lo
	v_lshrrev_b32_e32 v7, 16, v9
	v_add_co_u32 v15, vcc_lo, v15, s14
	v_and_b32_e32 v4, 0xffff, v4
	s_delay_alu instid0(VALU_DEP_4)
	v_and_or_b32 v1, 0x8000, v18, v19
	v_and_or_b32 v19, 0x1ff, v34, v33
	s_wait_alu 0xfffd
	v_add_co_ci_u32_e32 v16, vcc_lo, s15, v16, vcc_lo
	v_bfe_u32 v26, v34, 20, 11
	v_lshl_or_b32 v1, v1, 16, v4
	v_cvt_f32_f16_e32 v4, v10
	v_cmp_ne_u32_e32 vcc_lo, 0, v19
	v_and_or_b32 v2, 0x1ff, v3, v2
	v_lshl_or_b32 v33, v13, 12, v8
	global_store_b32 v[15:16], v1, off
	s_wait_alu 0xfffd
	v_cndmask_b32_e64 v28, 0, 1, vcc_lo
	v_cmp_ne_u32_e32 vcc_lo, 0, v2
	s_delay_alu instid0(VALU_DEP_2)
	v_and_or_b32 v28, 0xffe, v30, v28
	v_lshrrev_b32_e32 v30, 8, v3
	s_wait_loadcnt 0x1
	v_mul_f16_e32 v18, v31, v7
	v_mul_f16_e32 v31, v31, v9
	s_wait_loadcnt 0x0
	s_delay_alu instid0(VALU_DEP_2) | instskip(NEXT) | instid1(VALU_DEP_2)
	v_fmac_f16_e32 v18, v32, v9
	v_fma_f16 v1, v32, v7, -v31
	s_wait_alu 0xfffd
	v_cndmask_b32_e64 v7, 0, 1, vcc_lo
	v_cmp_ne_u32_e32 vcc_lo, v29, v23
	v_or_b32_e32 v31, 0x1000, v28
	v_cvt_f32_f16_e32 v10, v18
	v_cvt_f64_f32_e32 v[18:19], v4
	v_and_or_b32 v30, 0xffe, v30, v7
	s_wait_alu 0xfffd
	v_cndmask_b32_e64 v2, 0, 1, vcc_lo
	v_cmp_ne_u32_e32 vcc_lo, v37, v27
	v_cvt_f64_f32_e32 v[9:10], v10
	v_bfe_u32 v27, v3, 20, 11
	v_cvt_f32_f16_e32 v1, v1
	v_or_b32_e32 v2, v21, v2
	s_wait_alu 0xfffd
	v_cndmask_b32_e64 v23, 0, 1, vcc_lo
	v_lshl_or_b32 v21, v20, 12, v17
	v_cmp_gt_i32_e32 vcc_lo, 1, v20
	v_sub_nc_u32_e32 v29, 0x3f1, v27
	v_sub_nc_u32_e32 v4, 0x3f1, v26
	v_or_b32_e32 v23, v25, v23
	v_lshl_or_b32 v25, v22, 12, v5
	s_wait_alu 0xfffd
	v_cndmask_b32_e32 v21, v21, v2, vcc_lo
	v_cmp_gt_i32_e32 vcc_lo, 1, v22
	v_med3_i32 v7, v29, 0, 13
	v_cvt_f64_f32_e32 v[1:2], v1
	v_med3_i32 v4, v4, 0, 13
	v_lshrrev_b32_e32 v3, 16, v3
	s_wait_alu 0xfffd
	v_cndmask_b32_e32 v23, v25, v23, vcc_lo
	v_and_b32_e32 v25, 7, v21
	v_lshrrev_b32_e32 v21, 2, v21
	s_delay_alu instid0(VALU_DEP_3) | instskip(NEXT) | instid1(VALU_DEP_3)
	v_and_b32_e32 v29, 7, v23
	v_cmp_lt_i32_e32 vcc_lo, 5, v25
	v_cmp_eq_u32_e64 s0, 3, v25
	v_lshrrev_b32_e32 v23, 2, v23
	v_or_b32_e32 v25, 0x1000, v30
	v_cmp_lt_i32_e64 s1, 5, v29
	v_cmp_eq_u32_e64 s2, 3, v29
	s_or_b32 vcc_lo, s0, vcc_lo
	s_wait_alu 0xfffe
	v_add_co_ci_u32_e32 v21, vcc_lo, 0, v21, vcc_lo
	v_cmp_ne_u32_e32 vcc_lo, 0, v17
	v_mul_f64_e32 v[18:19], s[10:11], v[18:19]
	v_mul_f64_e32 v[9:10], s[10:11], v[9:10]
	s_wait_alu 0xfffd
	v_cndmask_b32_e64 v17, 0, 1, vcc_lo
	s_or_b32 vcc_lo, s2, s1
	s_wait_alu 0xfffe
	v_add_co_ci_u32_e32 v23, vcc_lo, 0, v23, vcc_lo
	v_cmp_ne_u32_e32 vcc_lo, 0, v5
	v_lshl_or_b32 v17, v17, 9, 0x7c00
	s_wait_alu 0xfffd
	v_cndmask_b32_e64 v5, 0, 1, vcc_lo
	v_cmp_gt_i32_e32 vcc_lo, 31, v20
	s_delay_alu instid0(VALU_DEP_2)
	v_lshl_or_b32 v5, v5, 9, 0x7c00
	s_wait_alu 0xfffd
	v_cndmask_b32_e32 v21, 0x7c00, v21, vcc_lo
	v_cmp_gt_i32_e32 vcc_lo, 31, v22
	s_wait_alu 0xfffd
	v_cndmask_b32_e32 v23, 0x7c00, v23, vcc_lo
	v_cmp_eq_u32_e32 vcc_lo, 0x40f, v20
	s_wait_alu 0xfffd
	v_cndmask_b32_e32 v17, v21, v17, vcc_lo
	v_cmp_eq_u32_e32 vcc_lo, 0x40f, v22
	v_mul_f64_e32 v[20:21], s[10:11], v[1:2]
	v_lshrrev_b32_e32 v22, v7, v25
	s_delay_alu instid0(VALU_DEP_4)
	v_and_or_b32 v12, 0x8000, v12, v17
	s_wait_alu 0xfffd
	v_cndmask_b32_e32 v5, v23, v5, vcc_lo
	v_lshrrev_b32_e32 v17, v4, v31
	v_add_co_u32 v1, vcc_lo, v15, s8
	v_and_b32_e32 v12, 0xffff, v12
	s_delay_alu instid0(VALU_DEP_4)
	v_and_or_b32 v5, 0x8000, v14, v5
	v_and_or_b32 v14, 0x1ff, v19, v18
	s_wait_alu 0xfffd
	v_add_co_ci_u32_e32 v2, vcc_lo, s9, v16, vcc_lo
	v_lshlrev_b32_e32 v15, v4, v17
	v_lshl_or_b32 v4, v5, 16, v12
	v_and_or_b32 v5, 0x1ff, v10, v9
	v_cmp_ne_u32_e32 vcc_lo, 0, v14
	v_lshrrev_b32_e32 v16, 8, v10
	v_lshrrev_b32_e32 v12, 8, v19
	global_store_b32 v[1:2], v4, off
	v_bfe_u32 v14, v19, 20, 11
	s_wait_alu 0xfffd
	v_cndmask_b32_e64 v9, 0, 1, vcc_lo
	v_cmp_ne_u32_e32 vcc_lo, 0, v5
	v_bfe_u32 v18, v10, 20, 11
	v_lshlrev_b32_e32 v7, v7, v22
	s_delay_alu instid0(VALU_DEP_4)
	v_and_or_b32 v12, 0xffe, v12, v9
	s_wait_alu 0xfffd
	v_cndmask_b32_e64 v5, 0, 1, vcc_lo
	v_add_co_u32 v4, vcc_lo, v1, s14
	v_sub_nc_u32_e32 v9, 0x3f1, v14
	v_sub_nc_u32_e32 v23, 0x3f1, v18
	s_delay_alu instid0(VALU_DEP_4)
	v_and_or_b32 v16, 0xffe, v16, v5
	s_wait_alu 0xfffd
	v_add_co_ci_u32_e32 v5, vcc_lo, s15, v2, vcc_lo
	v_cmp_ne_u32_e32 vcc_lo, v24, v42
	v_med3_i32 v1, v9, 0, 13
	v_or_b32_e32 v9, 0x1000, v12
	v_and_or_b32 v20, 0x1ff, v21, v20
	v_med3_i32 v2, v23, 0, 13
	s_wait_alu 0xfffd
	v_cndmask_b32_e64 v24, 0, 1, vcc_lo
	v_or_b32_e32 v23, 0x1000, v16
	v_lshrrev_b32_e32 v29, v1, v9
	v_cmp_ne_u32_e32 vcc_lo, 0, v20
	v_add_nc_u32_e32 v14, 0xfffffc10, v14
	v_or_b32_e32 v24, v39, v24
	scratch_load_b32 v39, off, off offset:36 th:TH_LOAD_LU ; 4-byte Folded Reload
	v_lshrrev_b32_e32 v32, v2, v23
	s_wait_alu 0xfffd
	v_cndmask_b32_e64 v20, 0, 1, vcc_lo
	v_cmp_gt_i32_e32 vcc_lo, 1, v13
	v_lshrrev_b32_e32 v35, 8, v21
	v_add_nc_u32_e32 v18, 0xfffffc10, v18
	v_lshlrev_b32_e32 v36, v2, v32
	s_wait_alu 0xfffd
	v_cndmask_b32_e32 v24, v33, v24, vcc_lo
	v_cmp_ne_u32_e32 vcc_lo, v15, v31
	v_lshlrev_b32_e32 v33, v1, v29
	v_add_nc_u32_e32 v15, 0xfffffc10, v26
	v_and_or_b32 v20, 0xffe, v35, v20
	v_and_b32_e32 v1, 7, v24
	s_wait_alu 0xfffd
	v_cndmask_b32_e64 v2, 0, 1, vcc_lo
	v_lshrrev_b32_e32 v24, 2, v24
	v_lshl_or_b32 v31, v15, 12, v28
	v_cmp_gt_i32_e64 s1, 1, v15
	v_cmp_lt_i32_e32 vcc_lo, 5, v1
	v_cmp_eq_u32_e64 s0, 3, v1
	v_or_b32_e32 v17, v17, v2
	ds_load_2addr_b32 v[1:2], v139 offset1:243
	v_bfe_u32 v35, v21, 20, 11
	v_or_b32_e32 v37, 0x1000, v20
	s_or_b32 vcc_lo, s0, vcc_lo
	v_cndmask_b32_e64 v17, v31, v17, s1
	s_wait_alu 0xfffe
	v_add_co_ci_u32_e32 v24, vcc_lo, 0, v24, vcc_lo
	v_cmp_ne_u32_e32 vcc_lo, 0, v8
	v_cmp_eq_u32_e64 s1, 0x40f, v13
	v_and_b32_e32 v31, 7, v17
	v_lshrrev_b32_e32 v17, 2, v17
	v_sub_nc_u32_e32 v26, 0x3f1, v35
	s_wait_alu 0xfffd
	v_cndmask_b32_e64 v8, 0, 1, vcc_lo
	v_cmp_gt_i32_e32 vcc_lo, 31, v13
	v_cmp_eq_u32_e64 s0, 3, v31
	v_lshrrev_b32_e32 v21, 16, v21
	v_med3_i32 v26, v26, 0, 13
	v_lshl_or_b32 v8, v8, 9, 0x7c00
	s_wait_alu 0xfffd
	v_cndmask_b32_e32 v24, 0x7c00, v24, vcc_lo
	v_cmp_lt_i32_e32 vcc_lo, 5, v31
	s_wait_dscnt 0x0
	v_lshrrev_b32_e32 v13, 16, v1
	v_lshrrev_b32_e32 v31, v26, v37
	s_wait_alu 0xf1ff
	v_cndmask_b32_e64 v8, v24, v8, s1
	s_or_b32 vcc_lo, s0, vcc_lo
	s_wait_alu 0xfffe
	v_add_co_ci_u32_e32 v17, vcc_lo, 0, v17, vcc_lo
	v_cmp_ne_u32_e32 vcc_lo, 0, v28
	v_and_or_b32 v8, 0x8000, v6, v8
	s_wait_alu 0xfffd
	v_cndmask_b32_e64 v24, 0, 1, vcc_lo
	v_cmp_gt_i32_e32 vcc_lo, 31, v15
	s_delay_alu instid0(VALU_DEP_3) | instskip(NEXT) | instid1(VALU_DEP_3)
	v_and_b32_e32 v8, 0xffff, v8
	v_lshl_or_b32 v24, v24, 9, 0x7c00
	s_wait_alu 0xfffd
	v_cndmask_b32_e32 v17, 0x7c00, v17, vcc_lo
	v_cmp_eq_u32_e32 vcc_lo, 0x40f, v15
	s_wait_alu 0xfffd
	s_delay_alu instid0(VALU_DEP_2)
	v_cndmask_b32_e32 v15, v17, v24, vcc_lo
	v_cmp_ne_u32_e32 vcc_lo, v7, v25
	v_add_nc_u32_e32 v24, 0xfffffc10, v27
	v_lshl_or_b32 v27, v14, 12, v12
	v_lshrrev_b32_e32 v25, 16, v34
	s_wait_alu 0xfffd
	v_cndmask_b32_e64 v17, 0, 1, vcc_lo
	v_cmp_ne_u32_e32 vcc_lo, v33, v9
	s_delay_alu instid0(VALU_DEP_3) | instskip(SKIP_1) | instid1(VALU_DEP_4)
	v_and_or_b32 v15, 0x8000, v25, v15
	v_lshlrev_b32_e32 v25, v26, v31
	v_or_b32_e32 v17, v22, v17
	s_wait_alu 0xfffd
	v_cndmask_b32_e64 v9, 0, 1, vcc_lo
	v_lshl_or_b32 v22, v24, 12, v30
	v_cmp_gt_i32_e32 vcc_lo, 1, v24
	v_lshl_or_b32 v15, v15, 16, v8
	s_delay_alu instid0(VALU_DEP_4)
	v_or_b32_e32 v9, v29, v9
	s_wait_alu 0xfffd
	v_cndmask_b32_e32 v17, v22, v17, vcc_lo
	v_cmp_gt_i32_e32 vcc_lo, 1, v14
	global_store_b32 v[4:5], v15, off
	v_add_nc_u32_e32 v15, 0xfffffc10, v35
	v_lshrrev_b32_e32 v8, 2, v17
	s_wait_alu 0xfffd
	v_cndmask_b32_e32 v22, v27, v9, vcc_lo
	v_and_b32_e32 v9, 7, v17
	scratch_load_b32 v27, off, off offset:20 th:TH_LOAD_LU ; 4-byte Folded Reload
	v_and_b32_e32 v26, 7, v22
	v_cmp_lt_i32_e32 vcc_lo, 5, v9
	v_cmp_eq_u32_e64 s0, 3, v9
	v_lshrrev_b32_e32 v22, 2, v22
	s_delay_alu instid0(VALU_DEP_4) | instskip(SKIP_1) | instid1(VALU_DEP_4)
	v_cmp_lt_i32_e64 s1, 5, v26
	v_cmp_eq_u32_e64 s2, 3, v26
	s_or_b32 vcc_lo, s0, vcc_lo
	v_cmp_ne_u32_e64 s0, v25, v37
	s_clause 0x1
	scratch_load_b32 v25, off, off offset:24 th:TH_LOAD_LU
	scratch_load_b32 v26, off, off offset:16 th:TH_LOAD_LU
	s_wait_loadcnt 0x3
	v_mul_f16_e32 v28, v39, v13
	s_delay_alu instid0(VALU_DEP_1) | instskip(SKIP_1) | instid1(VALU_DEP_2)
	v_fmac_f16_e32 v28, v38, v1
	v_mul_f16_e32 v1, v39, v1
	v_cvt_f32_f16_e32 v6, v28
	s_delay_alu instid0(VALU_DEP_2)
	v_fma_f16 v1, v38, v13, -v1
	s_wait_alu 0xfffe
	v_add_co_ci_u32_e32 v13, vcc_lo, 0, v8, vcc_lo
	v_cmp_ne_u32_e32 vcc_lo, 0, v30
	v_cvt_f64_f32_e32 v[6:7], v6
	v_cvt_f32_f16_e32 v1, v1
	s_wait_alu 0xfffd
	v_cndmask_b32_e64 v17, 0, 1, vcc_lo
	v_cmp_gt_i32_e32 vcc_lo, 31, v24
	s_delay_alu instid0(VALU_DEP_3) | instskip(NEXT) | instid1(VALU_DEP_3)
	v_cvt_f64_f32_e32 v[8:9], v1
	v_lshl_or_b32 v17, v17, 9, 0x7c00
	s_wait_alu 0xfffd
	v_cndmask_b32_e32 v1, 0x7c00, v13, vcc_lo
	v_cmp_ne_u32_e32 vcc_lo, v36, v23
	v_lshl_or_b32 v23, v18, 12, v16
	s_wait_alu 0xfffd
	v_cndmask_b32_e64 v13, 0, 1, vcc_lo
	s_or_b32 vcc_lo, s2, s1
	v_cmp_eq_u32_e64 s1, 0x40f, v18
	s_wait_alu 0xfffe
	v_add_co_ci_u32_e32 v22, vcc_lo, 0, v22, vcc_lo
	v_cmp_ne_u32_e32 vcc_lo, 0, v12
	v_or_b32_e32 v13, v32, v13
	s_wait_alu 0xfffd
	v_cndmask_b32_e64 v12, 0, 1, vcc_lo
	v_cmp_gt_i32_e32 vcc_lo, 1, v18
	s_delay_alu instid0(VALU_DEP_2)
	v_lshl_or_b32 v12, v12, 9, 0x7c00
	s_wait_alu 0xfffd
	v_cndmask_b32_e32 v13, v23, v13, vcc_lo
	v_cmp_gt_i32_e32 vcc_lo, 31, v14
	s_wait_alu 0xfffd
	v_cndmask_b32_e32 v22, 0x7c00, v22, vcc_lo
	v_cmp_eq_u32_e32 vcc_lo, 0x40f, v24
	scratch_load_b32 v24, off, off offset:28 th:TH_LOAD_LU ; 4-byte Folded Reload
	v_mul_f64_e32 v[6:7], s[10:11], v[6:7]
	s_wait_alu 0xfffd
	v_cndmask_b32_e32 v1, v1, v17, vcc_lo
	v_cmp_eq_u32_e32 vcc_lo, 0x40f, v14
	v_and_b32_e32 v17, 7, v13
	v_lshrrev_b32_e32 v14, 16, v19
	v_mul_f64_e32 v[8:9], s[10:11], v[8:9]
	v_and_or_b32 v1, 0x8000, v3, v1
	s_wait_alu 0xfffd
	v_cndmask_b32_e32 v12, v22, v12, vcc_lo
	v_cmp_lt_i32_e32 vcc_lo, 5, v17
	v_cndmask_b32_e64 v3, 0, 1, s0
	v_cmp_eq_u32_e64 s0, 3, v17
	v_lshrrev_b32_e32 v17, 16, v11
	v_and_or_b32 v14, 0x8000, v14, v12
	v_lshrrev_b32_e32 v12, 2, v13
	v_or_b32_e32 v3, v31, v3
	s_or_b32 vcc_lo, s0, vcc_lo
	v_lshl_or_b32 v13, v15, 12, v20
	v_and_b32_e32 v1, 0xffff, v1
	s_wait_alu 0xfffe
	v_add_co_ci_u32_e32 v12, vcc_lo, 0, v12, vcc_lo
	v_cmp_gt_i32_e32 vcc_lo, 1, v15
	s_delay_alu instid0(VALU_DEP_3) | instskip(SKIP_3) | instid1(VALU_DEP_2)
	v_lshl_or_b32 v1, v14, 16, v1
	s_wait_alu 0xfffd
	v_cndmask_b32_e32 v3, v13, v3, vcc_lo
	v_cmp_ne_u32_e32 vcc_lo, 0, v16
	v_and_b32_e32 v19, 7, v3
	s_wait_alu 0xfffd
	v_cndmask_b32_e64 v16, 0, 1, vcc_lo
	v_cmp_gt_i32_e32 vcc_lo, 31, v18
	v_lshrrev_b32_e32 v3, 2, v3
	v_cmp_eq_u32_e64 s0, 3, v19
	v_and_or_b32 v6, 0x1ff, v7, v6
	s_wait_alu 0xfffd
	v_cndmask_b32_e32 v22, 0x7c00, v12, vcc_lo
	v_lshrrev_b32_e32 v12, 8, v7
	v_bfe_u32 v23, v7, 20, 11
	v_lshl_or_b32 v16, v16, 9, 0x7c00
	v_cmp_ne_u32_e32 vcc_lo, 0, v6
	v_lshrrev_b32_e32 v7, 16, v7
	v_and_or_b32 v8, 0x1ff, v9, v8
	s_delay_alu instid0(VALU_DEP_4) | instskip(SKIP_4) | instid1(VALU_DEP_3)
	v_cndmask_b32_e64 v16, v22, v16, s1
	s_wait_alu 0xfffd
	v_cndmask_b32_e64 v6, 0, 1, vcc_lo
	v_cmp_lt_i32_e32 vcc_lo, 5, v19
	v_lshrrev_b32_e32 v22, 16, v10
	v_and_or_b32 v19, 0xffe, v12, v6
	v_sub_nc_u32_e32 v6, 0x3f1, v23
	s_or_b32 vcc_lo, s0, vcc_lo
	s_delay_alu instid0(VALU_DEP_3)
	v_and_or_b32 v16, 0x8000, v22, v16
	s_wait_alu 0xfffe
	v_add_co_ci_u32_e32 v3, vcc_lo, 0, v3, vcc_lo
	v_or_b32_e32 v18, 0x1000, v19
	v_med3_i32 v6, v6, 0, 13
	v_cmp_ne_u32_e32 vcc_lo, 0, v20
	v_lshrrev_b32_e32 v20, 8, v9
	v_and_b32_e32 v16, 0xffff, v16
	s_wait_loadcnt 0x0
	v_mul_f16_e32 v13, v24, v17
	v_mul_f16_e32 v10, v24, v11
	v_lshrrev_b32_e32 v24, v6, v18
	s_delay_alu instid0(VALU_DEP_3)
	v_fmac_f16_e32 v13, v25, v11
	s_wait_alu 0xfffd
	v_cndmask_b32_e64 v11, 0, 1, vcc_lo
	v_cmp_gt_i32_e32 vcc_lo, 31, v15
	v_lshlrev_b32_e32 v6, v6, v24
	v_fma_f16 v10, v25, v17, -v10
	v_bfe_u32 v25, v9, 20, 11
	v_lshl_or_b32 v17, v11, 9, 0x7c00
	s_wait_alu 0xfffd
	v_cndmask_b32_e32 v3, 0x7c00, v3, vcc_lo
	v_cmp_ne_u32_e32 vcc_lo, 0, v8
	v_cvt_f32_f16_e32 v13, v13
	v_cvt_f32_f16_e32 v10, v10
	v_lshrrev_b32_e32 v9, 16, v9
	s_wait_alu 0xfffd
	v_cndmask_b32_e64 v8, 0, 1, vcc_lo
	v_cmp_ne_u32_e32 vcc_lo, v6, v18
	v_add_nc_u32_e32 v18, 0xfffffc10, v23
	v_lshrrev_b32_e32 v23, 16, v0
	v_cvt_f64_f32_e32 v[12:13], v13
	v_and_or_b32 v8, 0xffe, v20, v8
	s_wait_alu 0xfffd
	v_cndmask_b32_e64 v6, 0, 1, vcc_lo
	v_sub_nc_u32_e32 v20, 0x3f1, v25
	v_cmp_eq_u32_e32 vcc_lo, 0x40f, v15
	v_cvt_f64_f32_e32 v[10:11], v10
	v_cmp_eq_u32_e64 s1, 0x40f, v18
	v_or_b32_e32 v6, v24, v6
	v_med3_i32 v15, v20, 0, 13
	s_wait_alu 0xfffd
	v_cndmask_b32_e32 v3, v3, v17, vcc_lo
	v_lshl_or_b32 v20, v18, 12, v19
	v_cmp_gt_i32_e32 vcc_lo, 1, v18
	v_or_b32_e32 v17, 0x1000, v8
	s_delay_alu instid0(VALU_DEP_4)
	v_and_or_b32 v3, 0x8000, v21, v3
	s_wait_alu 0xfffd
	v_cndmask_b32_e32 v6, v20, v6, vcc_lo
	v_add_co_u32 v14, vcc_lo, v4, s14
	v_mul_f16_e32 v4, v27, v23
	v_lshrrev_b32_e32 v22, v15, v17
	s_delay_alu instid0(VALU_DEP_4) | instskip(SKIP_1) | instid1(VALU_DEP_4)
	v_and_b32_e32 v21, 7, v6
	v_lshl_or_b32 v16, v3, 16, v16
	v_fmac_f16_e32 v4, v26, v0
	v_mul_f16_e32 v0, v27, v0
	scratch_load_b32 v27, off, off offset:12 th:TH_LOAD_LU ; 4-byte Folded Reload
	v_lshlrev_b32_e32 v20, v15, v22
	s_wait_alu 0xfffd
	v_add_co_ci_u32_e32 v15, vcc_lo, s15, v5, vcc_lo
	v_fma_f16 v0, v26, v23, -v0
	scratch_load_b32 v26, off, off offset:8 th:TH_LOAD_LU ; 4-byte Folded Reload
	v_cmp_ne_u32_e64 s0, v20, v17
	v_cmp_lt_i32_e32 vcc_lo, 5, v21
	v_lshrrev_b32_e32 v20, 2, v6
	v_add_nc_u32_e32 v17, 0xfffffc10, v25
	v_cvt_f32_f16_e32 v4, v4
	s_wait_alu 0xf1ff
	v_cndmask_b32_e64 v5, 0, 1, s0
	v_mul_f64_e32 v[12:13], s[10:11], v[12:13]
	v_cmp_eq_u32_e64 s0, 3, v21
	v_cvt_f32_f16_e32 v0, v0
	global_store_b32 v[14:15], v1, off
	v_or_b32_e32 v21, v22, v5
	v_mul_f64_e32 v[5:6], s[10:11], v[10:11]
	s_or_b32 vcc_lo, s0, vcc_lo
	v_lshl_or_b32 v22, v17, 12, v8
	s_wait_alu 0xfffe
	v_add_co_ci_u32_e32 v20, vcc_lo, 0, v20, vcc_lo
	v_cmp_ne_u32_e32 vcc_lo, 0, v19
	v_cvt_f64_f32_e32 v[10:11], v4
	s_wait_alu 0xfffd
	v_cndmask_b32_e64 v19, 0, 1, vcc_lo
	v_cmp_gt_i32_e32 vcc_lo, 1, v17
	s_delay_alu instid0(VALU_DEP_2) | instskip(SKIP_3) | instid1(VALU_DEP_2)
	v_lshl_or_b32 v19, v19, 9, 0x7c00
	s_wait_alu 0xfffd
	v_cndmask_b32_e32 v21, v22, v21, vcc_lo
	v_cmp_gt_i32_e32 vcc_lo, 31, v18
	v_and_b32_e32 v22, 7, v21
	s_wait_alu 0xfffd
	v_cndmask_b32_e32 v20, 0x7c00, v20, vcc_lo
	v_add_co_u32 v3, vcc_lo, v14, s8
	s_wait_alu 0xfffd
	v_add_co_ci_u32_e32 v4, vcc_lo, s9, v15, vcc_lo
	v_cmp_lt_i32_e32 vcc_lo, 5, v22
	v_cndmask_b32_e64 v18, v20, v19, s1
	v_lshrrev_b32_e32 v19, 2, v21
	global_store_b32 v[3:4], v16, off
	v_and_or_b32 v12, 0x1ff, v13, v12
	v_lshrrev_b32_e32 v24, 8, v13
	v_bfe_u32 v25, v13, 20, 11
	v_and_or_b32 v18, 0x8000, v7, v18
	v_lshrrev_b32_e32 v13, 16, v13
	v_cmp_ne_u32_e64 s0, 0, v12
	v_and_or_b32 v5, 0x1ff, v6, v5
	v_sub_nc_u32_e32 v20, 0x3f1, v25
	v_bfe_u32 v23, v6, 20, 11
	s_wait_alu 0xf1ff
	v_cndmask_b32_e64 v12, 0, 1, s0
	v_cmp_eq_u32_e64 s0, 3, v22
	v_med3_i32 v20, v20, 0, 13
	s_delay_alu instid0(VALU_DEP_3) | instskip(NEXT) | instid1(VALU_DEP_3)
	v_and_or_b32 v12, 0xffe, v24, v12
	s_or_b32 vcc_lo, s0, vcc_lo
	s_wait_alu 0xfffe
	v_add_co_ci_u32_e32 v19, vcc_lo, 0, v19, vcc_lo
	v_cmp_ne_u32_e32 vcc_lo, 0, v8
	v_or_b32_e32 v21, 0x1000, v12
	s_wait_alu 0xfffd
	v_cndmask_b32_e64 v8, 0, 1, vcc_lo
	v_cmp_gt_i32_e32 vcc_lo, 31, v17
	s_delay_alu instid0(VALU_DEP_3) | instskip(NEXT) | instid1(VALU_DEP_3)
	v_lshrrev_b32_e32 v22, v20, v21
	v_lshl_or_b32 v24, v8, 9, 0x7c00
	s_wait_alu 0xfffd
	v_cndmask_b32_e32 v19, 0x7c00, v19, vcc_lo
	v_cmp_ne_u32_e32 vcc_lo, 0, v5
	v_lshlrev_b32_e32 v20, v20, v22
	v_mul_f64_e32 v[7:8], s[10:11], v[10:11]
	v_lshrrev_b32_e32 v10, 8, v6
	v_lshrrev_b32_e32 v6, 16, v6
	s_wait_alu 0xfffd
	v_cndmask_b32_e64 v5, 0, 1, vcc_lo
	v_cmp_eq_u32_e32 vcc_lo, 0x40f, v17
	s_delay_alu instid0(VALU_DEP_2)
	v_and_or_b32 v5, 0xffe, v10, v5
	s_wait_alu 0xfffd
	v_cndmask_b32_e32 v17, v19, v24, vcc_lo
	v_cmp_ne_u32_e32 vcc_lo, v20, v21
	v_cvt_f64_f32_e32 v[10:11], v0
	v_add_nc_u32_e32 v19, 0xfffffc10, v25
	v_lshrrev_b32_e32 v24, 16, v2
	v_and_or_b32 v9, 0x8000, v9, v17
	s_wait_alu 0xfffd
	v_cndmask_b32_e64 v0, 0, 1, vcc_lo
	v_sub_nc_u32_e32 v20, 0x3f1, v23
	v_cmp_gt_i32_e32 vcc_lo, 1, v19
	v_or_b32_e32 v21, 0x1000, v5
	s_delay_alu instid0(VALU_DEP_4) | instskip(SKIP_3) | instid1(VALU_DEP_2)
	v_or_b32_e32 v0, v22, v0
	v_lshl_or_b32 v22, v19, 12, v12
	v_med3_i32 v20, v20, 0, 13
	s_wait_alu 0xfffd
	v_dual_cndmask_b32 v17, v22, v0 :: v_dual_and_b32 v0, 0xffff, v18
	v_add_nc_u32_e32 v18, 0xfffffc10, v23
	scratch_load_b32 v23, off, off offset:4 th:TH_LOAD_LU ; 4-byte Folded Reload
	v_lshrrev_b32_e32 v25, v20, v21
	v_and_b32_e32 v1, 7, v17
	v_lshl_or_b32 v0, v9, 16, v0
	s_delay_alu instid0(VALU_DEP_3) | instskip(NEXT) | instid1(VALU_DEP_3)
	v_lshlrev_b32_e32 v14, v20, v25
	v_cmp_lt_i32_e32 vcc_lo, 5, v1
	v_and_or_b32 v7, 0x1ff, v8, v7
	v_lshrrev_b32_e32 v20, 8, v8
	s_delay_alu instid0(VALU_DEP_4) | instskip(SKIP_1) | instid1(VALU_DEP_4)
	v_cmp_ne_u32_e64 s0, v14, v21
	v_bfe_u32 v21, v8, 20, 11
	v_cmp_ne_u32_e64 s1, 0, v7
	s_wait_alu 0xf1ff
	s_delay_alu instid0(VALU_DEP_3)
	v_cndmask_b32_e64 v16, 0, 1, s0
	v_cmp_eq_u32_e64 s0, 3, v1
	v_lshrrev_b32_e32 v1, 2, v17
	v_lshl_or_b32 v17, v18, 12, v5
	v_cndmask_b32_e64 v7, 0, 1, s1
	v_or_b32_e32 v16, v25, v16
	v_cmp_gt_i32_e64 s1, 1, v18
	s_or_b32 vcc_lo, s0, vcc_lo
	s_wait_alu 0xfffe
	v_add_co_ci_u32_e32 v1, vcc_lo, 0, v1, vcc_lo
	v_cmp_ne_u32_e32 vcc_lo, 0, v12
	v_and_or_b32 v7, 0xffe, v20, v7
	s_wait_alu 0xfffd
	v_cndmask_b32_e64 v12, 0, 1, vcc_lo
	s_delay_alu instid0(VALU_DEP_2) | instskip(NEXT) | instid1(VALU_DEP_2)
	v_or_b32_e32 v20, 0x1000, v7
	v_lshl_or_b32 v12, v12, 9, 0x7c00
	s_wait_loadcnt 0x2
	v_mul_f16_e32 v22, v27, v24
	s_wait_loadcnt 0x1
	s_delay_alu instid0(VALU_DEP_1) | instskip(SKIP_1) | instid1(VALU_DEP_2)
	v_fmac_f16_e32 v22, v26, v2
	v_mul_f16_e32 v2, v27, v2
	v_cvt_f32_f16_e32 v9, v22
	s_delay_alu instid0(VALU_DEP_2)
	v_fma_f16 v2, v26, v24, -v2
	scratch_load_b32 v24, off, off th:TH_LOAD_LU ; 4-byte Folded Reload
	v_cvt_f64_f32_e32 v[14:15], v9
	v_mul_f64_e32 v[9:10], s[10:11], v[10:11]
	v_cndmask_b32_e64 v11, v17, v16, s1
	v_sub_nc_u32_e32 v16, 0x3f1, v21
	v_cmp_gt_i32_e64 s1, 31, v19
	s_delay_alu instid0(VALU_DEP_3) | instskip(SKIP_1) | instid1(VALU_DEP_4)
	v_and_b32_e32 v17, 7, v11
	v_lshrrev_b32_e32 v11, 2, v11
	v_med3_i32 v16, v16, 0, 13
	s_wait_alu 0xf1ff
	v_cndmask_b32_e64 v1, 0x7c00, v1, s1
	v_cmp_lt_i32_e32 vcc_lo, 5, v17
	v_cmp_eq_u32_e64 s0, 3, v17
	v_lshrrev_b32_e32 v17, v16, v20
	s_delay_alu instid0(VALU_DEP_2) | instskip(NEXT) | instid1(VALU_DEP_1)
	s_or_b32 vcc_lo, s0, vcc_lo
	v_lshlrev_b32_e32 v16, v16, v17
	s_wait_alu 0xfffe
	v_add_co_ci_u32_e32 v22, vcc_lo, 0, v11, vcc_lo
	v_cmp_eq_u32_e32 vcc_lo, 0x40f, v19
	s_wait_alu 0xfffd
	v_cndmask_b32_e32 v1, v1, v12, vcc_lo
	v_cmp_ne_u32_e32 vcc_lo, 0, v5
	s_wait_alu 0xfffd
	v_cndmask_b32_e64 v5, 0, 1, vcc_lo
	v_cmp_ne_u32_e32 vcc_lo, v16, v20
	v_add_nc_u32_e32 v16, 0xfffffc10, v21
	v_and_or_b32 v20, 0x8000, v13, v1
	v_cvt_f32_f16_e32 v1, v2
	v_mul_f64_e32 v[11:12], s[10:11], v[14:15]
	ds_load_b32 v14, v120 offset:25272
	s_wait_alu 0xfffd
	v_cndmask_b32_e64 v15, 0, 1, vcc_lo
	v_cmp_gt_i32_e32 vcc_lo, 31, v18
	v_and_or_b32 v9, 0x1ff, v10, v9
	v_lshl_or_b32 v5, v5, 9, 0x7c00
	v_cvt_f64_f32_e32 v[1:2], v1
	v_or_b32_e32 v15, v17, v15
	s_wait_alu 0xfffd
	v_cndmask_b32_e32 v19, 0x7c00, v22, vcc_lo
	v_lshl_or_b32 v17, v16, 12, v7
	v_cmp_gt_i32_e32 vcc_lo, 1, v16
	s_wait_alu 0xfffd
	s_delay_alu instid0(VALU_DEP_2)
	v_dual_cndmask_b32 v13, v17, v15 :: v_dual_and_b32 v20, 0xffff, v20
	v_cmp_ne_u32_e32 vcc_lo, 0, v9
	v_lshrrev_b32_e32 v15, 8, v10
	v_bfe_u32 v17, v10, 20, 11
	v_lshrrev_b32_e32 v10, 16, v10
	s_wait_alu 0xfffd
	v_cndmask_b32_e64 v9, 0, 1, vcc_lo
	s_wait_dscnt 0x0
	v_lshrrev_b32_e32 v21, 16, v14
	v_cmp_eq_u32_e32 vcc_lo, 0x40f, v18
	v_and_b32_e32 v18, 7, v13
	v_and_or_b32 v9, 0xffe, v15, v9
	v_sub_nc_u32_e32 v15, 0x3f1, v17
	s_wait_alu 0xfffd
	v_cndmask_b32_e32 v5, v19, v5, vcc_lo
	v_cmp_lt_i32_e32 vcc_lo, 5, v18
	v_cmp_eq_u32_e64 s0, 3, v18
	v_or_b32_e32 v22, 0x1000, v9
	v_med3_i32 v15, v15, 0, 13
	v_and_or_b32 v18, 0x8000, v6, v5
	v_lshrrev_b32_e32 v5, 2, v13
	s_or_b32 vcc_lo, s0, vcc_lo
	v_add_nc_u32_e32 v17, 0xfffffc10, v17
	v_lshrrev_b32_e32 v13, v15, v22
	v_and_or_b32 v11, 0x1ff, v12, v11
	v_lshl_or_b32 v18, v18, 16, v20
	s_delay_alu instid0(VALU_DEP_3) | instskip(SKIP_3) | instid1(VALU_DEP_2)
	v_lshlrev_b32_e32 v15, v15, v13
	v_mul_f64_e32 v[1:2], s[10:11], v[1:2]
	s_wait_loadcnt 0x1
	v_mul_f16_e32 v19, v23, v21
	v_and_or_b32 v1, 0x1ff, v2, v1
	s_wait_loadcnt 0x0
	s_delay_alu instid0(VALU_DEP_2) | instskip(SKIP_2) | instid1(VALU_DEP_3)
	v_fmac_f16_e32 v19, v24, v14
	v_mul_f16_e32 v14, v23, v14
	v_lshrrev_b32_e32 v23, 8, v12
	v_cvt_f32_f16_e32 v6, v19
	s_wait_alu 0xfffe
	v_add_co_ci_u32_e32 v19, vcc_lo, 0, v5, vcc_lo
	v_cmp_ne_u32_e32 vcc_lo, 0, v7
	v_fma_f16 v14, v24, v21, -v14
	v_cvt_f64_f32_e32 v[5:6], v6
	v_bfe_u32 v21, v12, 20, 11
	v_lshrrev_b32_e32 v12, 16, v12
	s_wait_alu 0xfffd
	v_cndmask_b32_e64 v7, 0, 1, vcc_lo
	v_cmp_ne_u32_e32 vcc_lo, 0, v11
	v_cvt_f32_f16_e32 v14, v14
	s_delay_alu instid0(VALU_DEP_3) | instskip(SKIP_4) | instid1(VALU_DEP_3)
	v_lshl_or_b32 v7, v7, 9, 0x7c00
	s_wait_alu 0xfffd
	v_cndmask_b32_e64 v11, 0, 1, vcc_lo
	v_cmp_ne_u32_e32 vcc_lo, v15, v22
	v_sub_nc_u32_e32 v22, 0x3f1, v21
	v_and_or_b32 v11, 0xffe, v23, v11
	s_wait_alu 0xfffd
	v_cndmask_b32_e64 v15, 0, 1, vcc_lo
	v_cmp_gt_i32_e32 vcc_lo, 31, v16
	v_lshl_or_b32 v23, v17, 12, v9
	v_med3_i32 v22, v22, 0, 13
	v_or_b32_e32 v24, 0x1000, v11
	v_or_b32_e32 v15, v13, v15
	v_cvt_f64_f32_e32 v[13:14], v14
	s_wait_alu 0xfffd
	v_cndmask_b32_e32 v19, 0x7c00, v19, vcc_lo
	v_cmp_gt_i32_e32 vcc_lo, 1, v17
	v_lshrrev_b32_e32 v25, v22, v24
	s_wait_alu 0xfffd
	v_cndmask_b32_e32 v15, v23, v15, vcc_lo
	v_add_co_u32 v3, vcc_lo, v3, s14
	s_wait_alu 0xfffd
	v_add_co_ci_u32_e32 v4, vcc_lo, s15, v4, vcc_lo
	s_delay_alu instid0(VALU_DEP_3) | instskip(SKIP_2) | instid1(VALU_DEP_3)
	v_and_b32_e32 v23, 7, v15
	v_cmp_eq_u32_e32 vcc_lo, 0x40f, v16
	v_lshlrev_b32_e32 v22, v22, v25
	v_cmp_eq_u32_e64 s0, 3, v23
	s_wait_alu 0xfffd
	v_cndmask_b32_e32 v16, v19, v7, vcc_lo
	v_cmp_lt_i32_e32 vcc_lo, 5, v23
	v_lshrrev_b32_e32 v7, 2, v15
	v_mul_f64_e32 v[5:6], s[10:11], v[5:6]
	v_cmp_ne_u32_e64 s1, v22, v24
	v_lshrrev_b32_e32 v19, 16, v8
	s_or_b32 vcc_lo, s0, vcc_lo
	v_add_nc_u32_e32 v15, 0xfffffc10, v21
	s_wait_alu 0xfffe
	v_add_co_ci_u32_e32 v7, vcc_lo, 0, v7, vcc_lo
	v_cmp_ne_u32_e32 vcc_lo, 0, v9
	v_cndmask_b32_e64 v8, 0, 1, s1
	v_lshl_or_b32 v21, v15, 12, v11
	v_bfe_u32 v23, v2, 20, 11
	v_and_or_b32 v16, 0x8000, v19, v16
	s_wait_alu 0xfffd
	v_cndmask_b32_e64 v9, 0, 1, vcc_lo
	v_cmp_gt_i32_e32 vcc_lo, 31, v17
	v_or_b32_e32 v20, v25, v8
	v_and_b32_e32 v16, 0xffff, v16
	s_delay_alu instid0(VALU_DEP_4)
	v_lshl_or_b32 v9, v9, 9, 0x7c00
	s_wait_alu 0xfffd
	v_cndmask_b32_e32 v22, 0x7c00, v7, vcc_lo
	v_mul_f64_e32 v[7:8], s[10:11], v[13:14]
	v_add_co_u32 v13, vcc_lo, v3, s14
	s_wait_alu 0xfffd
	v_add_co_ci_u32_e32 v14, vcc_lo, s15, v4, vcc_lo
	v_cmp_gt_i32_e32 vcc_lo, 1, v15
	s_wait_alu 0xfffd
	v_cndmask_b32_e32 v20, v21, v20, vcc_lo
	v_cmp_ne_u32_e32 vcc_lo, 0, v1
	v_lshrrev_b32_e32 v21, 8, v2
	v_lshrrev_b32_e32 v2, 16, v2
	s_wait_alu 0xfffd
	v_cndmask_b32_e64 v1, 0, 1, vcc_lo
	v_cmp_eq_u32_e32 vcc_lo, 0x40f, v17
	v_and_b32_e32 v17, 7, v20
	v_and_or_b32 v5, 0x1ff, v6, v5
	s_delay_alu instid0(VALU_DEP_4)
	v_and_or_b32 v1, 0xffe, v21, v1
	s_wait_alu 0xfffd
	v_cndmask_b32_e32 v9, v22, v9, vcc_lo
	v_sub_nc_u32_e32 v21, 0x3f1, v23
	v_cmp_lt_i32_e32 vcc_lo, 5, v17
	v_cmp_eq_u32_e64 s0, 3, v17
	v_lshrrev_b32_e32 v17, 2, v20
	v_and_or_b32 v9, 0x8000, v10, v9
	v_or_b32_e32 v10, 0x1000, v1
	v_med3_i32 v19, v21, 0, 13
	s_or_b32 vcc_lo, s0, vcc_lo
	v_lshrrev_b32_e32 v21, 8, v6
	s_wait_alu 0xfffe
	v_add_co_ci_u32_e32 v17, vcc_lo, 0, v17, vcc_lo
	v_lshrrev_b32_e32 v20, v19, v10
	v_cmp_ne_u32_e32 vcc_lo, 0, v5
	v_bfe_u32 v22, v6, 20, 11
	v_lshrrev_b32_e32 v6, 16, v6
	v_and_or_b32 v7, 0x1ff, v8, v7
	v_lshlrev_b32_e32 v19, v19, v20
	s_wait_alu 0xfffd
	v_cndmask_b32_e64 v5, 0, 1, vcc_lo
	v_cmp_ne_u32_e32 vcc_lo, 0, v11
	v_lshrrev_b32_e32 v24, 8, v8
	v_bfe_u32 v25, v8, 20, 11
	v_lshl_or_b32 v9, v9, 16, v16
	v_and_or_b32 v5, 0xffe, v21, v5
	s_wait_alu 0xfffd
	v_cndmask_b32_e64 v11, 0, 1, vcc_lo
	v_cmp_ne_u32_e32 vcc_lo, v19, v10
	v_sub_nc_u32_e32 v21, 0x3f1, v22
	v_add_nc_u32_e32 v19, 0xfffffc10, v23
	v_or_b32_e32 v23, 0x1000, v5
	v_lshl_or_b32 v11, v11, 9, 0x7c00
	s_wait_alu 0xfffd
	v_cndmask_b32_e64 v10, 0, 1, vcc_lo
	v_cmp_gt_i32_e32 vcc_lo, 31, v15
	v_med3_i32 v21, v21, 0, 13
	s_delay_alu instid0(VALU_DEP_3)
	v_or_b32_e32 v10, v20, v10
	s_wait_alu 0xfffd
	v_cndmask_b32_e32 v17, 0x7c00, v17, vcc_lo
	v_cmp_ne_u32_e32 vcc_lo, 0, v7
	v_lshl_or_b32 v20, v19, 12, v1
	v_lshrrev_b32_e32 v26, v21, v23
	s_wait_alu 0xfffd
	v_cndmask_b32_e64 v7, 0, 1, vcc_lo
	v_cmp_gt_i32_e32 vcc_lo, 1, v19
	s_delay_alu instid0(VALU_DEP_2)
	v_and_or_b32 v7, 0xffe, v24, v7
	v_sub_nc_u32_e32 v24, 0x3f1, v25
	s_wait_alu 0xfffd
	v_cndmask_b32_e32 v10, v20, v10, vcc_lo
	v_lshlrev_b32_e32 v20, v21, v26
	v_cmp_eq_u32_e32 vcc_lo, 0x40f, v15
	v_or_b32_e32 v21, 0x1000, v7
	v_med3_i32 v24, v24, 0, 13
	v_and_b32_e32 v27, 7, v10
	v_lshrrev_b32_e32 v10, 2, v10
	s_wait_alu 0xfffd
	v_cndmask_b32_e32 v11, v17, v11, vcc_lo
	v_cmp_ne_u32_e32 vcc_lo, v20, v23
	v_add_nc_u32_e32 v17, 0xfffffc10, v22
	v_lshrrev_b32_e32 v20, v24, v21
	v_cmp_eq_u32_e64 s0, 3, v27
	v_and_or_b32 v11, 0x8000, v12, v11
	s_wait_alu 0xfffd
	v_cndmask_b32_e64 v15, 0, 1, vcc_lo
	v_lshl_or_b32 v22, v17, 12, v5
	v_lshlrev_b32_e32 v23, v24, v20
	v_cmp_gt_i32_e64 s1, 1, v17
	v_cmp_lt_i32_e32 vcc_lo, 5, v27
	v_or_b32_e32 v15, v26, v15
	v_and_b32_e32 v11, 0xffff, v11
	s_or_b32 vcc_lo, s0, vcc_lo
	s_delay_alu instid0(VALU_DEP_2)
	v_cndmask_b32_e64 v15, v22, v15, s1
	v_cmp_ne_u32_e64 s1, v23, v21
	v_add_nc_u32_e32 v22, 0xfffffc10, v25
	s_wait_alu 0xfffe
	v_add_co_ci_u32_e32 v10, vcc_lo, 0, v10, vcc_lo
	v_and_b32_e32 v23, 7, v15
	s_wait_alu 0xf1ff
	v_cndmask_b32_e64 v21, 0, 1, s1
	v_cmp_ne_u32_e32 vcc_lo, 0, v1
	v_cmp_gt_i32_e64 s0, 1, v22
	v_lshrrev_b32_e32 v15, 2, v15
	v_cmp_gt_i32_e64 s1, 31, v19
	v_or_b32_e32 v20, v20, v21
	v_lshl_or_b32 v21, v22, 12, v7
	s_wait_alu 0xfffd
	v_cndmask_b32_e64 v1, 0, 1, vcc_lo
	v_cmp_lt_i32_e32 vcc_lo, 5, v23
	s_wait_alu 0xf1ff
	v_cndmask_b32_e64 v10, 0x7c00, v10, s1
	v_cmp_eq_u32_e64 s1, 0x40f, v19
	v_cndmask_b32_e64 v12, v21, v20, s0
	v_cmp_eq_u32_e64 s0, 3, v23
	v_lshl_or_b32 v1, v1, 9, 0x7c00
	s_delay_alu instid0(VALU_DEP_3) | instskip(NEXT) | instid1(VALU_DEP_3)
	v_and_b32_e32 v20, 7, v12
	s_or_b32 vcc_lo, s0, vcc_lo
	s_delay_alu instid0(VALU_DEP_2)
	v_cndmask_b32_e64 v1, v10, v1, s1
	s_wait_alu 0xfffe
	v_add_co_ci_u32_e32 v15, vcc_lo, 0, v15, vcc_lo
	v_cmp_ne_u32_e32 vcc_lo, 0, v5
	v_cmp_eq_u32_e64 s0, 3, v20
	v_lshrrev_b32_e32 v10, 2, v12
	v_cmp_gt_i32_e64 s1, 31, v17
	s_wait_alu 0xfffd
	v_cndmask_b32_e64 v5, 0, 1, vcc_lo
	v_cmp_lt_i32_e32 vcc_lo, 5, v20
	s_wait_alu 0xf1ff
	v_cndmask_b32_e64 v12, 0x7c00, v15, s1
	s_delay_alu instid0(VALU_DEP_3)
	v_lshl_or_b32 v5, v5, 9, 0x7c00
	s_or_b32 vcc_lo, s0, vcc_lo
	s_wait_alu 0xfffe
	v_add_co_ci_u32_e32 v10, vcc_lo, 0, v10, vcc_lo
	v_cmp_ne_u32_e32 vcc_lo, 0, v7
	s_wait_alu 0xfffd
	v_cndmask_b32_e64 v7, 0, 1, vcc_lo
	v_cmp_eq_u32_e32 vcc_lo, 0x40f, v17
	s_delay_alu instid0(VALU_DEP_2) | instskip(SKIP_4) | instid1(VALU_DEP_3)
	v_lshl_or_b32 v7, v7, 9, 0x7c00
	s_wait_alu 0xfffd
	v_cndmask_b32_e32 v5, v12, v5, vcc_lo
	v_cmp_gt_i32_e32 vcc_lo, 31, v22
	v_and_or_b32 v12, 0x8000, v2, v1
	v_and_or_b32 v5, 0x8000, v6, v5
	s_wait_alu 0xfffd
	v_cndmask_b32_e32 v10, 0x7c00, v10, vcc_lo
	v_cmp_eq_u32_e32 vcc_lo, 0x40f, v22
	s_wait_alu 0xfffd
	s_delay_alu instid0(VALU_DEP_2) | instskip(SKIP_4) | instid1(VALU_DEP_3)
	v_cndmask_b32_e32 v6, v10, v7, vcc_lo
	v_lshrrev_b32_e32 v7, 16, v8
	v_add_co_u32 v1, vcc_lo, v13, s8
	s_wait_alu 0xfffd
	v_add_co_ci_u32_e32 v2, vcc_lo, s9, v14, vcc_lo
	v_and_or_b32 v7, 0x8000, v7, v6
	v_and_b32_e32 v8, 0xffff, v5
	v_add_co_u32 v5, vcc_lo, v1, s14
	s_wait_alu 0xfffd
	v_add_co_ci_u32_e32 v6, vcc_lo, s15, v2, vcc_lo
	v_lshl_or_b32 v10, v12, 16, v11
	v_lshl_or_b32 v11, v7, 16, v8
	v_add_co_u32 v7, vcc_lo, v5, s14
	s_wait_alu 0xfffd
	v_add_co_ci_u32_e32 v8, vcc_lo, s15, v6, vcc_lo
	global_store_b32 v[3:4], v0, off
	global_store_b32 v[13:14], v18, off
	;; [unrolled: 1-line block ×5, first 2 shown]
.LBB0_2:
	s_nop 0
	s_sendmsg sendmsg(MSG_DEALLOC_VGPRS)
	s_endpgm
	.section	.rodata,"a",@progbits
	.p2align	6, 0x0
	.amdhsa_kernel bluestein_single_fwd_len6561_dim1_half_op_CI_CI
		.amdhsa_group_segment_fixed_size 26244
		.amdhsa_private_segment_fixed_size 416
		.amdhsa_kernarg_size 104
		.amdhsa_user_sgpr_count 2
		.amdhsa_user_sgpr_dispatch_ptr 0
		.amdhsa_user_sgpr_queue_ptr 0
		.amdhsa_user_sgpr_kernarg_segment_ptr 1
		.amdhsa_user_sgpr_dispatch_id 0
		.amdhsa_user_sgpr_private_segment_size 0
		.amdhsa_wavefront_size32 1
		.amdhsa_uses_dynamic_stack 0
		.amdhsa_enable_private_segment 1
		.amdhsa_system_sgpr_workgroup_id_x 1
		.amdhsa_system_sgpr_workgroup_id_y 0
		.amdhsa_system_sgpr_workgroup_id_z 0
		.amdhsa_system_sgpr_workgroup_info 0
		.amdhsa_system_vgpr_workitem_id 0
		.amdhsa_next_free_vgpr 256
		.amdhsa_next_free_sgpr 20
		.amdhsa_reserve_vcc 1
		.amdhsa_float_round_mode_32 0
		.amdhsa_float_round_mode_16_64 0
		.amdhsa_float_denorm_mode_32 3
		.amdhsa_float_denorm_mode_16_64 3
		.amdhsa_fp16_overflow 0
		.amdhsa_workgroup_processor_mode 1
		.amdhsa_memory_ordered 1
		.amdhsa_forward_progress 0
		.amdhsa_round_robin_scheduling 0
		.amdhsa_exception_fp_ieee_invalid_op 0
		.amdhsa_exception_fp_denorm_src 0
		.amdhsa_exception_fp_ieee_div_zero 0
		.amdhsa_exception_fp_ieee_overflow 0
		.amdhsa_exception_fp_ieee_underflow 0
		.amdhsa_exception_fp_ieee_inexact 0
		.amdhsa_exception_int_div_zero 0
	.end_amdhsa_kernel
	.text
.Lfunc_end0:
	.size	bluestein_single_fwd_len6561_dim1_half_op_CI_CI, .Lfunc_end0-bluestein_single_fwd_len6561_dim1_half_op_CI_CI
                                        ; -- End function
	.section	.AMDGPU.csdata,"",@progbits
; Kernel info:
; codeLenInByte = 63664
; NumSgprs: 22
; NumVgprs: 256
; ScratchSize: 416
; MemoryBound: 0
; FloatMode: 240
; IeeeMode: 1
; LDSByteSize: 26244 bytes/workgroup (compile time only)
; SGPRBlocks: 2
; VGPRBlocks: 31
; NumSGPRsForWavesPerEU: 22
; NumVGPRsForWavesPerEU: 256
; Occupancy: 5
; WaveLimiterHint : 1
; COMPUTE_PGM_RSRC2:SCRATCH_EN: 1
; COMPUTE_PGM_RSRC2:USER_SGPR: 2
; COMPUTE_PGM_RSRC2:TRAP_HANDLER: 0
; COMPUTE_PGM_RSRC2:TGID_X_EN: 1
; COMPUTE_PGM_RSRC2:TGID_Y_EN: 0
; COMPUTE_PGM_RSRC2:TGID_Z_EN: 0
; COMPUTE_PGM_RSRC2:TIDIG_COMP_CNT: 0
	.text
	.p2alignl 7, 3214868480
	.fill 96, 4, 3214868480
	.type	__hip_cuid_3a2348badcfce560,@object ; @__hip_cuid_3a2348badcfce560
	.section	.bss,"aw",@nobits
	.globl	__hip_cuid_3a2348badcfce560
__hip_cuid_3a2348badcfce560:
	.byte	0                               ; 0x0
	.size	__hip_cuid_3a2348badcfce560, 1

	.ident	"AMD clang version 19.0.0git (https://github.com/RadeonOpenCompute/llvm-project roc-6.4.0 25133 c7fe45cf4b819c5991fe208aaa96edf142730f1d)"
	.section	".note.GNU-stack","",@progbits
	.addrsig
	.addrsig_sym __hip_cuid_3a2348badcfce560
	.amdgpu_metadata
---
amdhsa.kernels:
  - .args:
      - .actual_access:  read_only
        .address_space:  global
        .offset:         0
        .size:           8
        .value_kind:     global_buffer
      - .actual_access:  read_only
        .address_space:  global
        .offset:         8
        .size:           8
        .value_kind:     global_buffer
      - .actual_access:  read_only
        .address_space:  global
        .offset:         16
        .size:           8
        .value_kind:     global_buffer
      - .actual_access:  read_only
        .address_space:  global
        .offset:         24
        .size:           8
        .value_kind:     global_buffer
      - .actual_access:  read_only
        .address_space:  global
        .offset:         32
        .size:           8
        .value_kind:     global_buffer
      - .offset:         40
        .size:           8
        .value_kind:     by_value
      - .address_space:  global
        .offset:         48
        .size:           8
        .value_kind:     global_buffer
      - .address_space:  global
        .offset:         56
        .size:           8
        .value_kind:     global_buffer
      - .address_space:  global
        .offset:         64
        .size:           8
        .value_kind:     global_buffer
      - .address_space:  global
        .offset:         72
        .size:           8
        .value_kind:     global_buffer
      - .offset:         80
        .size:           4
        .value_kind:     by_value
      - .address_space:  global
        .offset:         88
        .size:           8
        .value_kind:     global_buffer
      - .address_space:  global
        .offset:         96
        .size:           8
        .value_kind:     global_buffer
    .group_segment_fixed_size: 26244
    .kernarg_segment_align: 8
    .kernarg_segment_size: 104
    .language:       OpenCL C
    .language_version:
      - 2
      - 0
    .max_flat_workgroup_size: 243
    .name:           bluestein_single_fwd_len6561_dim1_half_op_CI_CI
    .private_segment_fixed_size: 416
    .sgpr_count:     22
    .sgpr_spill_count: 0
    .symbol:         bluestein_single_fwd_len6561_dim1_half_op_CI_CI.kd
    .uniform_work_group_size: 1
    .uses_dynamic_stack: false
    .vgpr_count:     256
    .vgpr_spill_count: 103
    .wavefront_size: 32
    .workgroup_processor_mode: 1
amdhsa.target:   amdgcn-amd-amdhsa--gfx1201
amdhsa.version:
  - 1
  - 2
...

	.end_amdgpu_metadata
